;; amdgpu-corpus repo=ROCm/aiter kind=harvested arch=n/a opt=n/a

/root/src/amdgpu-assembly/repos/ROCm__aiter/hsa/gfx942/fmoe/gelu/fmoe_bf16_pertokenFp8_g1u1_vs_gelu_1tg_ps_32x320.co:	file format elf64-amdgpu

Disassembly of section .text:

0000000000002e00 <_ZN5aiter48fmoe_bf16_pertokenFp8_g1u1_vs_gelu_1tg_ps_32x320E>:
	v_lshrrev_b32_e32 v1, 10, v0                               // 000000002E00: 2002008A
	v_lshrrev_b32_e32 v2, 10, v1                               // 000000002E04: 2004028A
	v_and_b32_e32 v2, 0x3ff, v2                                // 000000002E08: 260404FF 000003FF
	v_and_b32_e32 v1, 0x3ff, v1                                // 000000002E10: 260202FF 000003FF
	v_and_b32_e32 v0, 0x3ff, v0                                // 000000002E18: 260000FF 000003FF
	v_lshrrev_b32_e32 v3, 6, v0                                // 000000002E20: 20060086
	v_and_b32_e32 v0, 63, v0                                   // 000000002E24: 260000BF
	s_mov_b32 s2, s2                                           // 000000002E28: BE820002
	s_mov_b32 s3, s3                                           // 000000002E2C: BE830003
	s_mov_b32 s4, s4                                           // 000000002E30: BE840004
	s_mov_b32 s99, s2                                          // 000000002E34: BEE30002
	v_readfirstlane_b32 s7, v3                                 // 000000002E38: 7E0E0503
	s_and_b32 s1, s1, 0xffff                                   // 000000002E3C: 8601FF01 0000FFFF
	s_mov_b32 s96, 0                                           // 000000002E44: BEE00080
	s_mov_b32 s97, 0                                           // 000000002E48: BEE10080
	s_mov_b32 s100, 0                                          // 000000002E4C: BEE40080
	s_load_dword s96, s[0:1], 0x1a0                            // 000000002E50: C0021800 000001A0
	s_load_dword s97, s[0:1], 0x1b0                            // 000000002E58: C0021840 000001B0
	s_waitcnt lgkmcnt(0)                                       // 000000002E60: BF8CC07F
	s_cmp_eq_u32 s96, 0                                        // 000000002E64: BF068060
	s_cbranch_scc1 label_005C                                  // 000000002E68: BF850041
	v_cvt_f32_u32_e32 v50, s97                                 // 000000002E6C: 7E640C61
	s_sub_i32 s60, 0, s97                                      // 000000002E70: 81BC6180
	v_rcp_iflag_f32_e32 v50, v50                               // 000000002E74: 7E644732
	s_nop 0                                                    // 000000002E78: BF800000
	v_mul_f32_e32 v50, 0x4f7ffffe, v50                         // 000000002E7C: 0A6464FF 4F7FFFFE
	v_cvt_u32_f32_e32 v50, v50                                 // 000000002E84: 7E640F32
	v_mul_lo_u32 v51, s60, v50                                 // 000000002E88: D2850033 0002643C
	v_mul_hi_u32 v51, v50, v51                                 // 000000002E90: D2860033 00026732
	v_add_u32_e32 v50, v50, v51                                // 000000002E98: 68646732
	v_mul_hi_u32 v50, s96, v50                                 // 000000002E9C: D2860032 00026460
	v_mul_lo_u32 v51, v50, s97                                 // 000000002EA4: D2850033 0000C332
	v_sub_u32_e32 v53, s96, v51                                // 000000002EAC: 6A6A6660
	v_add_u32_e32 v52, 1, v50                                  // 000000002EB0: 68686481
	v_cmp_le_u32_e32 vcc, s97, v53                             // 000000002EB4: 7D966A61
	v_subrev_u32_e32 v51, s97, v53                             // 000000002EB8: 6C666A61
	s_nop 0                                                    // 000000002EBC: BF800000
	v_cndmask_b32_e32 v50, v50, v52, vcc                       // 000000002EC0: 00646932
	v_cndmask_b32_e32 v53, v53, v51, vcc                       // 000000002EC4: 006A6735
	v_add_u32_e32 v51, 1, v50                                  // 000000002EC8: 68666481
	v_cmp_le_u32_e32 vcc, s97, v53                             // 000000002ECC: 7D966A61
	s_nop 1                                                    // 000000002ED0: BF800001
	v_cndmask_b32_e32 v53, v50, v51, vcc                       // 000000002ED4: 006A6732
	s_nop 3                                                    // 000000002ED8: BF800003
	v_readfirstlane_b32 s98, v53                               // 000000002EDC: 7EC40535
	s_nop 3                                                    // 000000002EE0: BF800003

0000000000002ee4 <label_0039>:
	s_mov_b32 s4, 0                                            // 000000002EE4: BE840080
	v_cvt_f32_u32_e32 v50, s97                                 // 000000002EE8: 7E640C61
	s_sub_i32 s60, 0, s97                                      // 000000002EEC: 81BC6180
	v_rcp_iflag_f32_e32 v50, v50                               // 000000002EF0: 7E644732
	s_nop 0                                                    // 000000002EF4: BF800000
	v_mul_f32_e32 v50, 0x4f7ffffe, v50                         // 000000002EF8: 0A6464FF 4F7FFFFE
	v_cvt_u32_f32_e32 v50, v50                                 // 000000002F00: 7E640F32
	v_mul_lo_u32 v51, s60, v50                                 // 000000002F04: D2850033 0002643C
	v_mul_hi_u32 v51, v50, v51                                 // 000000002F0C: D2860033 00026732
	v_add_u32_e32 v50, v50, v51                                // 000000002F14: 68646732
	v_mul_hi_u32 v50, s99, v50                                 // 000000002F18: D2860032 00026463
	v_mul_lo_u32 v51, v50, s97                                 // 000000002F20: D2850033 0000C332
	v_sub_u32_e32 v53, s99, v51                                // 000000002F28: 6A6A6663
	v_add_u32_e32 v52, 1, v50                                  // 000000002F2C: 68686481
	v_cmp_le_u32_e32 vcc, s97, v53                             // 000000002F30: 7D966A61
	v_subrev_u32_e32 v51, s97, v53                             // 000000002F34: 6C666A61
	s_nop 0                                                    // 000000002F38: BF800000
	v_cndmask_b32_e32 v50, v50, v52, vcc                       // 000000002F3C: 00646932
	v_cndmask_b32_e32 v53, v53, v51, vcc                       // 000000002F40: 006A6735
	v_add_u32_e32 v51, 1, v50                                  // 000000002F44: 68666481
	v_cmp_le_u32_e32 vcc, s97, v53                             // 000000002F48: 7D966A61
	s_nop 1                                                    // 000000002F4C: BF800001
	v_cndmask_b32_e32 v53, v50, v51, vcc                       // 000000002F50: 006A6732
	s_nop 3                                                    // 000000002F54: BF800003
	v_readfirstlane_b32 s3, v53                                // 000000002F58: 7E060535
	s_nop 3                                                    // 000000002F5C: BF800003
	s_mul_i32 s60, s3, s97                                     // 000000002F60: 923C6103
	s_sub_u32 s2, s99, s60                                     // 000000002F64: 80823C63
	s_mul_i32 s60, s98, s100                                   // 000000002F68: 923C6462
	s_add_i32 s3, s3, s60                                      // 000000002F6C: 81033C03

0000000000002f70 <label_005C>:
	s_and_b32 s1, s1, 0xffff                                   // 000000002F70: 8601FF01 0000FFFF
	s_load_dwordx2 s[8:9], s[0:1], 0x0                         // 000000002F78: C0060200 00000000
	s_load_dwordx2 s[20:21], s[0:1], 0x10                      // 000000002F80: C0060500 00000010
	s_load_dwordx2 s[24:25], s[0:1], 0x20                      // 000000002F88: C0060600 00000020
	s_load_dwordx2 s[50:51], s[0:1], 0x30                      // 000000002F90: C0060C80 00000030
	s_load_dwordx2 s[12:13], s[0:1], 0x40                      // 000000002F98: C0060300 00000040
	s_load_dwordx2 s[28:29], s[0:1], 0x50                      // 000000002FA0: C0060700 00000050
	s_load_dwordx2 s[32:33], s[0:1], 0x60                      // 000000002FA8: C0060800 00000060
	s_load_dwordx2 s[16:17], s[0:1], 0x70                      // 000000002FB0: C0060400 00000070
	s_load_dwordx2 s[36:37], s[0:1], 0x80                      // 000000002FB8: C0060900 00000080
	s_load_dwordx2 s[44:45], s[0:1], 0x90                      // 000000002FC0: C0060B00 00000090
	s_load_dwordx2 s[40:41], s[0:1], 0xa0                      // 000000002FC8: C0060A00 000000A0
	s_load_dwordx2 s[46:47], s[0:1], 0xb0                      // 000000002FD0: C0060B80 000000B0
	s_load_dword s64, s[0:1], 0xc0                             // 000000002FD8: C0021000 000000C0
	s_load_dword s65, s[0:1], 0xd0                             // 000000002FE0: C0021040 000000D0
	s_load_dword s67, s[0:1], 0xf0                             // 000000002FE8: C00210C0 000000F0
	s_load_dword s68, s[0:1], 0x100                            // 000000002FF0: C0021100 00000100
	s_load_dword s69, s[0:1], 0x110                            // 000000002FF8: C0021140 00000110
	s_load_dword s70, s[0:1], 0x120                            // 000000003000: C0021180 00000120
	s_load_dword s71, s[0:1], 0x130                            // 000000003008: C00211C0 00000130
	s_load_dword s72, s[0:1], 0x140                            // 000000003010: C0021200 00000140
	s_load_dword s73, s[0:1], 0x150                            // 000000003018: C0021240 00000150
	s_load_dword s74, s[0:1], 0x160                            // 000000003020: C0021280 00000160
	s_load_dword s75, s[0:1], 0x170                            // 000000003028: C00212C0 00000170
	s_load_dword s76, s[0:1], 0x180                            // 000000003030: C0021300 00000180
	s_mov_b32 s2, s2                                           // 000000003038: BE820002
	s_mov_b32 s3, s3                                           // 00000000303C: BE830003
	s_mov_b32 s4, s4                                           // 000000003040: BE840004
	s_waitcnt lgkmcnt(0)                                       // 000000003044: BF8CC07F
	s_and_b32 s51, s51, 0xffff                                 // 000000003048: 8633FF33 0000FFFF
	s_load_dword s66, s[50:51], 0x4                            // 000000003050: C0021099 00000004
	s_load_dword s50, s[50:51], 0x0                            // 000000003058: C0020C99 00000000
	s_waitcnt lgkmcnt(0)                                       // 000000003060: BF8CC07F
	s_and_b32 s45, s45, 0xffff                                 // 000000003064: 862DFF2D 0000FFFF
	s_and_b32 s47, s47, 0xffff                                 // 00000000306C: 862FFF2F 0000FFFF
	s_and_b32 s9, s9, 0xffff                                   // 000000003074: 8609FF09 0000FFFF
	s_mul_i32 s60, s66, s68                                    // 00000000307C: 923C4442
	s_mul_i32 s61, s66, 4                                      // 000000003080: 923D8442
	s_mov_b32 s22, s60                                         // 000000003084: BE96003C
	s_mov_b32 s26, -16                                         // 000000003088: BE9A00D0
	s_mov_b32 s14, -16                                         // 00000000308C: BE8E00D0
	s_mov_b32 s42, -16                                         // 000000003090: BEAA00D0
	s_mov_b32 s30, s61                                         // 000000003094: BE9E003D
	s_mov_b32 s34, 0x500                                       // 000000003098: BEA200FF 00000500
	s_mov_b32 s38, 0x500                                       // 0000000030A0: BEA600FF 00000500
	s_mov_b32 s18, -16                                         // 0000000030A8: BE9200D0
	s_mov_b32 s23, 0x20000                                     // 0000000030AC: BE9700FF 00020000
	s_mov_b32 s27, 0x20000                                     // 0000000030B4: BE9B00FF 00020000
	s_mov_b32 s15, 0x20000                                     // 0000000030BC: BE8F00FF 00020000
	s_mov_b32 s43, 0x20000                                     // 0000000030C4: BEAB00FF 00020000
	s_mov_b32 s31, 0x20000                                     // 0000000030CC: BE9F00FF 00020000
	s_mov_b32 s35, 0x20000                                     // 0000000030D4: BEA300FF 00020000
	s_mov_b32 s39, 0x20000                                     // 0000000030DC: BEA700FF 00020000
	s_mov_b32 s19, 0x20000                                     // 0000000030E4: BE9300FF 00020000
	s_and_b32 s21, s21, 0xffff                                 // 0000000030EC: 8615FF15 0000FFFF
	s_and_b32 s25, s25, 0xffff                                 // 0000000030F4: 8619FF19 0000FFFF
	s_and_b32 s13, s13, 0xffff                                 // 0000000030FC: 860DFF0D 0000FFFF
	s_and_b32 s41, s41, 0xffff                                 // 000000003104: 8629FF29 0000FFFF
	s_and_b32 s29, s29, 0xffff                                 // 00000000310C: 861DFF1D 0000FFFF
	s_and_b32 s33, s33, 0xffff                                 // 000000003114: 8621FF21 0000FFFF
	s_and_b32 s37, s37, 0xffff                                 // 00000000311C: 8625FF25 0000FFFF
	s_and_b32 s17, s17, 0xffff                                 // 000000003124: 8611FF11 0000FFFF
	s_or_b32 s21, s21, 0x40000                                 // 00000000312C: 8715FF15 00040000
	s_or_b32 s25, s25, 0x40000                                 // 000000003134: 8719FF19 00040000
	s_or_b32 s13, s13, 0x40000                                 // 00000000313C: 870DFF0D 00040000
	s_or_b32 s41, s41, 0x40000                                 // 000000003144: 8729FF29 00040000
	s_or_b32 s29, s29, 0x40000                                 // 00000000314C: 871DFF1D 00040000
	s_or_b32 s33, s33, 0x40000                                 // 000000003154: 8721FF21 00040000
	s_or_b32 s37, s37, 0x40000                                 // 00000000315C: 8725FF25 00040000
	s_or_b32 s17, s17, 0x40000                                 // 000000003164: 8711FF11 00040000
	v_accvgpr_write_b32 a159, 0                                // 00000000316C: D3D9409F 18000080
	v_mov_b32_e32 v231, 0                                      // 000000003174: 7FCE0280
	s_waitcnt lgkmcnt(0)                                       // 000000003178: BF8CC07F
	s_mul_i32 s60, s3, 32                                      // 00000000317C: 923CA003
	s_cmp_lt_i32 s60, s50                                      // 000000003180: BF04323C
	s_cbranch_scc0 label_1DC8                                  // 000000003184: BF841CE6
	s_mov_b32 s80, 0                                           // 000000003188: BED00080
	s_mov_b32 s81, s64                                         // 00000000318C: BED10040
	s_mul_i32 s60, s3, 4                                       // 000000003190: 923C8403
	s_add_u32 s46, s60, s46                                    // 000000003194: 802E2E3C
	s_addc_u32 s47, 0, s47                                     // 000000003198: 822F2F80
	s_load_dword s5, s[46:47], 0x0                             // 00000000319C: C0020157 00000000
	s_mul_i32 s60, s3, 32                                      // 0000000031A4: 923CA003
	s_mul_i32 s60, 4, s60                                      // 0000000031A8: 923C3C84
	v_and_b32_e32 v50, 15, v0                                  // 0000000031AC: 2664008F
	v_lshlrev_b32_e32 v50, 2, v50                              // 0000000031B0: 24646482
	v_add_u32_e32 v50, s60, v50                                // 0000000031B4: 6864643C
	v_mov_b32_e32 v51, 0                                       // 0000000031B8: 7E660280
	global_load_dword v6, v50, s[44:45]                        // 0000000031BC: DC508000 062C0032
	v_add_u32_e32 v50, 64, v50                                 // 0000000031C4: 686464C0
	global_load_dword v7, v50, s[44:45]                        // 0000000031C8: DC508000 072C0032
	s_mul_i32 s60, s3, 32                                      // 0000000031D0: 923CA003
	s_add_u32 s60, s7, s60                                     // 0000000031D4: 803C3C07
	s_mul_i32 s60, 4, s60                                      // 0000000031D8: 923C3C84
	s_add_u32 s44, s60, s44                                    // 0000000031DC: 802C2C3C
	s_addc_u32 s45, 0, s45                                     // 0000000031E0: 822D2D80
	s_load_dword s82, s[44:45], 0x0                            // 0000000031E4: C0021496 00000000
	s_load_dword s83, s[44:45], 0x10                           // 0000000031EC: C00214D6 00000010
	s_load_dword s84, s[44:45], 0x20                           // 0000000031F4: C0021516 00000020
	s_load_dword s85, s[44:45], 0x30                           // 0000000031FC: C0021556 00000030
	s_load_dword s86, s[44:45], 0x40                           // 000000003204: C0021596 00000040
	s_load_dword s87, s[44:45], 0x50                           // 00000000320C: C00215D6 00000050
	s_load_dword s88, s[44:45], 0x60                           // 000000003214: C0021616 00000060
	s_load_dword s89, s[44:45], 0x70                           // 00000000321C: C0021656 00000070
	s_waitcnt lgkmcnt(0)                                       // 000000003224: BF8CC07F
	v_lshlrev_b32_e32 v50, 2, v0                               // 000000003228: 24640082
	s_and_b32 s82, s82, 0xffffff                               // 00000000322C: 8652FF52 00FFFFFF
	s_mul_i32 s60, s82, s68                                    // 000000003234: 923C4452
	v_add_u32_e64 v26, v50, s60                                // 000000003238: D134001A 00007932
	s_and_b32 s83, s83, 0xffffff                               // 000000003240: 8653FF53 00FFFFFF
	s_mul_i32 s60, s83, s68                                    // 000000003248: 923C4453
	v_add_u32_e64 v27, v50, s60                                // 00000000324C: D134001B 00007932
	s_and_b32 s84, s84, 0xffffff                               // 000000003254: 8654FF54 00FFFFFF
	s_mul_i32 s60, s84, s68                                    // 00000000325C: 923C4454
	v_add_u32_e64 v28, v50, s60                                // 000000003260: D134001C 00007932
	s_and_b32 s85, s85, 0xffffff                               // 000000003268: 8655FF55 00FFFFFF
	s_mul_i32 s60, s85, s68                                    // 000000003270: 923C4455
	v_add_u32_e64 v29, v50, s60                                // 000000003274: D134001D 00007932
	s_and_b32 s86, s86, 0xffffff                               // 00000000327C: 8656FF56 00FFFFFF
	s_mul_i32 s60, s86, s68                                    // 000000003284: 923C4456
	v_add_u32_e64 v30, v50, s60                                // 000000003288: D134001E 00007932
	s_and_b32 s87, s87, 0xffffff                               // 000000003290: 8657FF57 00FFFFFF
	s_mul_i32 s60, s87, s68                                    // 000000003298: 923C4457
	v_add_u32_e64 v31, v50, s60                                // 00000000329C: D134001F 00007932
	s_and_b32 s88, s88, 0xffffff                               // 0000000032A4: 8658FF58 00FFFFFF
	s_mul_i32 s60, s88, s68                                    // 0000000032AC: 923C4458
	v_add_u32_e64 v32, v50, s60                                // 0000000032B0: D1340020 00007932
	s_and_b32 s89, s89, 0xffffff                               // 0000000032B8: 8659FF59 00FFFFFF
	s_mul_i32 s60, s89, s68                                    // 0000000032C0: 923C4459
	v_add_u32_e64 v33, v50, s60                                // 0000000032C4: D1340021 00007932
	v_lshlrev_b32_e32 v50, 2, v0                               // 0000000032CC: 24640082
	s_mul_i32 s60, s82, s71                                    // 0000000032D0: 923C4752
	v_add_u32_e64 v80, v50, s60                                // 0000000032D4: D1340050 00007932
	v_mov_b32_e32 v81, 0                                       // 0000000032DC: 7EA20280
	s_mul_i32 s60, s83, s71                                    // 0000000032E0: 923C4753
	v_add_u32_e64 v82, v50, s60                                // 0000000032E4: D1340052 00007932
	v_mov_b32_e32 v83, 0                                       // 0000000032EC: 7EA60280
	s_mul_i32 s60, s84, s71                                    // 0000000032F0: 923C4754
	v_add_u32_e64 v84, v50, s60                                // 0000000032F4: D1340054 00007932
	v_mov_b32_e32 v85, 0                                       // 0000000032FC: 7EAA0280
	s_mul_i32 s60, s85, s71                                    // 000000003300: 923C4755
	v_add_u32_e64 v86, v50, s60                                // 000000003304: D1340056 00007932
	v_mov_b32_e32 v87, 0                                       // 00000000330C: 7EAE0280
	s_mul_i32 s60, s86, s71                                    // 000000003310: 923C4756
	v_add_u32_e64 v88, v50, s60                                // 000000003314: D1340058 00007932
	v_mov_b32_e32 v89, 0                                       // 00000000331C: 7EB20280
	s_mul_i32 s60, s87, s71                                    // 000000003320: 923C4757
	v_add_u32_e64 v90, v50, s60                                // 000000003324: D134005A 00007932
	v_mov_b32_e32 v91, 0                                       // 00000000332C: 7EB60280
	s_mul_i32 s60, s88, s71                                    // 000000003330: 923C4758
	v_add_u32_e64 v92, v50, s60                                // 000000003334: D134005C 00007932
	v_mov_b32_e32 v93, 0                                       // 00000000333C: 7EBA0280
	s_mul_i32 s60, s89, s71                                    // 000000003340: 923C4759
	v_add_u32_e64 v94, v50, s60                                // 000000003344: D134005E 00007932
	v_mov_b32_e32 v95, 0                                       // 00000000334C: 7EBE0280
	s_mul_i32 s60, s7, 0x820                                   // 000000003350: 923CFF07 00000820
	s_add_u32 s50, 0, s60                                      // 000000003358: 80323C80
	s_add_u32 s51, 0x2080, s50                                 // 00000000335C: 803332FF 00002080
	v_lshrrev_b32_e32 v50, 4, v0                               // 000000003364: 20640084
	v_lshlrev_b32_e32 v51, 2, v50                              // 000000003368: 24666482
	v_and_b32_e32 v50, 15, v0                                  // 00000000336C: 2664008F
	v_lshrrev_b32_e32 v52, 2, v50                              // 000000003370: 20686482
	v_lshlrev_b32_e32 v52, 6, v52                              // 000000003374: 24686886
	v_add_u32_e32 v51, v52, v51                                // 000000003378: 68666734
	v_and_b32_e32 v50, 3, v0                                   // 00000000337C: 26640083
	v_mul_i32_i24_e32 v52, 0x208, v50                          // 000000003380: 0C6864FF 00000208
	v_add_u32_e32 v51, v52, v51                                // 000000003388: 68666734
	v_lshlrev_b32_e32 v2, 2, v51                               // 00000000338C: 24046682
	s_mul_i32 s60, s2, 0x140                                   // 000000003390: 923CFF02 00000140
	s_mul_i32 s60, s60, s69                                    // 000000003398: 923C453C
	s_mul_i32 s61, s5, s72                                     // 00000000339C: 923D4805
	s_add_u32 s60, s61, s60                                    // 0000000033A0: 803C3C3D
	s_add_u32 s24, s60, s24                                    // 0000000033A4: 8018183C
	s_addc_u32 s25, 0, s25                                     // 0000000033A8: 82191980
	s_mul_i32 s60, s7, 16                                      // 0000000033AC: 923C9007
	s_mul_i32 s60, s60, s69                                    // 0000000033B0: 923C453C
	v_lshlrev_b32_e32 v34, 4, v0                               // 0000000033B4: 24440084
	v_add_u32_e32 v34, s60, v34                                // 0000000033B8: 6844443C
	s_mul_i32 s60, 64, s69                                     // 0000000033BC: 923C45C0
	v_add_u32_e32 v35, s60, v34                                // 0000000033C0: 6846443C
	v_add_u32_e32 v36, s60, v35                                // 0000000033C4: 6848463C
	v_add_u32_e32 v37, s60, v36                                // 0000000033C8: 684A483C
	v_add_u32_e32 v38, s60, v37                                // 0000000033CC: 684C4A3C
	s_mov_b32 s92, s24                                         // 0000000033D0: BEDC0018
	s_mov_b32 s93, s25                                         // 0000000033D4: BEDD0019
	s_mov_b32 s94, s26                                         // 0000000033D8: BEDE001A
	s_mov_b32 s95, s27                                         // 0000000033DC: BEDF001B
	s_mul_i32 s60, s69, s65                                    // 0000000033E0: 923C4145
	s_add_u32 s92, s60, s92                                    // 0000000033E4: 805C5C3C
	s_addc_u32 s93, 0, s93                                     // 0000000033E8: 825D5D80
	s_mul_i32 s60, s2, 0x1400                                  // 0000000033EC: 923CFF02 00001400
	s_mul_i32 s61, s5, s73                                     // 0000000033F4: 923D4905
	s_add_u32 s60, s61, s60                                    // 0000000033F8: 803C3C3D
	s_add_u32 s12, s60, s12                                    // 0000000033FC: 800C0C3C
	s_addc_u32 s13, 0, s13                                     // 000000003400: 820D0D80
	s_mul_i32 s60, s7, 16                                      // 000000003404: 923C9007
	s_mul_i32 s60, s60, s70                                    // 000000003408: 923C463C
	v_lshlrev_b32_e32 v39, 4, v0                               // 00000000340C: 244E0084
	v_add_u32_e32 v39, s60, v39                                // 000000003410: 684E4E3C
	s_mul_i32 s60, 64, s70                                     // 000000003414: 923C46C0
	v_add_u32_e32 v40, s60, v39                                // 000000003418: 68504E3C
	v_add_u32_e32 v41, s60, v40                                // 00000000341C: 6852503C
	v_add_u32_e32 v42, s60, v41                                // 000000003420: 6854523C
	s_mul_i32 s60, s70, 0x100                                  // 000000003424: 923CFF46 00000100
	s_mov_b32 s78, 0x400                                       // 00000000342C: BECE00FF 00000400
	s_mul_i32 s61, s78, 4                                      // 000000003434: 923D844E
	s_sub_u32 s56, s60, s61                                    // 000000003438: 80B83D3C
	s_mul_i32 s60, s3, 32                                      // 00000000343C: 923CA003
	s_mul_i32 s60, 4, s60                                      // 000000003440: 923C3C84
	s_add_u32 s40, s60, s40                                    // 000000003444: 8028283C
	s_addc_u32 s41, 0, s41                                     // 000000003448: 82292980
	v_and_b32_e32 v50, 15, v0                                  // 00000000344C: 2664008F
	v_lshlrev_b32_e32 v8, 2, v50                               // 000000003450: 24106482
	v_add_u32_e32 v9, 64, v8                                   // 000000003454: 681210C0
	v_lshrrev_b32_e32 v50, 4, v0                               // 000000003458: 20640084
	v_lshlrev_b32_e32 v51, 2, v50                              // 00000000345C: 24666482
	v_and_b32_e32 v50, 15, v0                                  // 000000003460: 2664008F
	v_lshrrev_b32_e32 v52, 2, v50                              // 000000003464: 20686482
	v_lshlrev_b32_e32 v52, 6, v52                              // 000000003468: 24686886
	v_add_u32_e32 v51, v52, v51                                // 00000000346C: 68666734
	v_and_b32_e32 v50, 3, v0                                   // 000000003470: 26640083
	v_add_u32_e32 v51, v50, v51                                // 000000003474: 68666732
	v_lshlrev_b32_e32 v10, 2, v51                              // 000000003478: 24146682
	v_add_u32_e32 v11, 0x400, v10                              // 00000000347C: 681614FF 00000400
	s_mul_i32 s60, s7, 16                                      // 000000003484: 923C9007
	s_mul_i32 s60, s60, 4                                      // 000000003488: 923C843C
	v_add_u32_e32 v10, s60, v10                                // 00000000348C: 6814143C
	v_add_u32_e32 v11, s60, v11                                // 000000003490: 6816163C
	v_mov_b32_e32 v5, v10                                      // 000000003494: 7E0A030A
	s_mul_i32 s60, s2, 0x140                                   // 000000003498: 923CFF02 00000140
	s_mul_i32 s60, s60, 4                                      // 0000000034A0: 923C843C
	s_mul_i32 s61, s5, s74                                     // 0000000034A4: 923D4A05
	s_add_u32 s61, s61, s60                                    // 0000000034A8: 803D3C3D
	s_mul_i32 s62, s5, s76                                     // 0000000034AC: 923E4C05
	s_add_u32 s62, s62, s60                                    // 0000000034B0: 803E3C3E
	s_add_u32 s32, s61, s32                                    // 0000000034B4: 8020203D
	s_addc_u32 s33, 0, s33                                     // 0000000034B8: 82212180
	s_add_u32 s36, s62, s36                                    // 0000000034BC: 8024243E
	s_addc_u32 s37, 0, s37                                     // 0000000034C0: 82252580
	s_mul_i32 s60, s5, s75                                     // 0000000034C4: 923C4B05
	s_add_u32 s16, s60, s16                                    // 0000000034C8: 8010103C
	s_addc_u32 s17, 0, s17                                     // 0000000034CC: 82111180
	s_mov_b32 s57, 0x100                                       // 0000000034D0: BEB900FF 00000100
	s_mov_b32 s58, 0x1000                                      // 0000000034D8: BEBA00FF 00001000
	s_mov_b32 s79, 0x400                                       // 0000000034E0: BECF00FF 00000400
	s_mov_b32 s59, 0x200                                       // 0000000034E8: BEBB00FF 00000200
	s_mov_b32 s90, s58                                         // 0000000034F0: BEDA003A
	s_mov_b32 s52, 0x7060302                                   // 0000000034F4: BEB400FF 07060302
	s_mov_b32 s53, 0x400                                       // 0000000034FC: BEB500FF 00000400
	s_mov_b32 s54, 0x40100                                     // 000000003504: BEB600FF 00040100
	s_mov_b32 s55, 0x4020100                                   // 00000000350C: BEB700FF 04020100
	s_mov_b32 s6, 0x3fb8aa3b                                   // 000000003514: BE8600FF 3FB8AA3B
	s_mov_b32 s77, 0xbd92220c                                  // 00000000351C: BECD00FF BD92220C
	s_mov_b32 m0, s50                                          // 000000003524: BEFC0032
	v_mov_b32_e32 v1, 0xbfcc4231                               // 000000003528: 7E0202FF BFCC4231
	v_mov_b32_e32 v44, 0xffff0000                              // 000000003530: 7E5802FF FFFF0000
	v_mov_b32_e32 v45, 0x7fff0000                              // 000000003538: 7E5A02FF 7FFF0000
	v_mov_b32_e32 v46, 0x7fff                                  // 000000003540: 7E5C02FF 00007FFF
	s_waitcnt vmcnt(0) expcnt(0) lgkmcnt(0)                    // 000000003548: BF8C0000
	v_and_b32_e32 v6, 0xffffff, v6                             // 00000000354C: 260C0CFF 00FFFFFF
	v_and_b32_e32 v7, 0xffffff, v7                             // 000000003554: 260E0EFF 00FFFFFF
	v_lshlrev_b32_e32 v6, 2, v6                                // 00000000355C: 240C0C82
	v_lshlrev_b32_e32 v7, 2, v7                                // 000000003560: 240E0E82
	buffer_load_dword v14, v6, s[28:31], 0 offen               // 000000003564: E0501000 80070E06
	buffer_load_dword v15, v7, s[28:31], 0 offen               // 00000000356C: E0501000 80070F07
	buffer_load_dword v16, v10, s[32:35], 0 offen              // 000000003574: E0501000 8008100A
	buffer_load_dword v17, v11, s[32:35], 0 offen              // 00000000357C: E0501000 8008110B
	s_mul_i32 s60, 4, s65                                      // 000000003584: 923C4184
	s_add_u32 s32, s60, s32                                    // 000000003588: 8020203C
	s_addc_u32 s33, 0, s33                                     // 00000000358C: 82212180
	buffer_load_dword v47, v10, s[32:35], 0 offen              // 000000003590: E0501000 80082F0A
	buffer_load_dword v48, v11, s[32:35], 0 offen              // 000000003598: E0501000 8008300B
	buffer_load_dword v20, v8, s[40:43], 0 offen               // 0000000035A0: E0501000 800A1408
	buffer_load_dword v21, v9, s[40:43], 0 offen               // 0000000035A8: E0501000 800A1509
	buffer_load_dword v26, s[20:23], 0 offen lds               // 0000000035B0: E0511000 8005001A
	s_add_u32 m0, 0x100, s50                                   // 0000000035B8: 807C32FF 00000100
	buffer_load_dword v27, s[20:23], 0 offen lds               // 0000000035C0: E0511000 8005001B
	s_add_u32 m0, 0x200, s50                                   // 0000000035C8: 807C32FF 00000200
	buffer_load_dword v28, s[20:23], 0 offen lds               // 0000000035D0: E0511000 8005001C
	s_add_u32 m0, 0x300, s50                                   // 0000000035D8: 807C32FF 00000300
	buffer_load_dword v29, s[20:23], 0 offen lds               // 0000000035E0: E0511000 8005001D
	s_add_u32 m0, 0x400, s50                                   // 0000000035E8: 807C32FF 00000400
	buffer_load_dword v30, s[20:23], 0 offen lds               // 0000000035F0: E0511000 8005001E
	s_add_u32 m0, 0x500, s50                                   // 0000000035F8: 807C32FF 00000500
	buffer_load_dword v31, s[20:23], 0 offen lds               // 000000003600: E0511000 8005001F
	s_add_u32 m0, 0x600, s50                                   // 000000003608: 807C32FF 00000600
	buffer_load_dword v32, s[20:23], 0 offen lds               // 000000003610: E0511000 80050020
	s_add_u32 m0, 0x700, s50                                   // 000000003618: 807C32FF 00000700
	buffer_load_dword v33, s[20:23], 0 offen lds               // 000000003620: E0511000 80050021
	s_add_u32 m0, 0, s51                                       // 000000003628: 807C3380
	s_add_u32 s20, s57, s20                                    // 00000000362C: 80141439
	s_addc_u32 s21, 0, s21                                     // 000000003630: 82151580
	buffer_load_dwordx4 a[0:3], v34, s[24:27], 0 offen         // 000000003634: E05C1000 80860022
	buffer_load_dwordx4 a[4:7], v34, s[24:27], 0 offen offset:1024// 00000000363C: E05C1400 80860422
	buffer_load_dwordx4 a[8:11], v34, s[24:27], 0 offen offset:2048// 000000003644: E05C1800 80860822
	buffer_load_dwordx4 a[12:15], v34, s[24:27], 0 offen offset:3072// 00000000364C: E05C1C00 80860C22
	buffer_load_dwordx4 a[16:19], v35, s[24:27], 0 offen       // 000000003654: E05C1000 80861023
	buffer_load_dwordx4 a[20:23], v35, s[24:27], 0 offen offset:1024// 00000000365C: E05C1400 80861423
	buffer_load_dwordx4 a[24:27], v35, s[24:27], 0 offen offset:2048// 000000003664: E05C1800 80861823
	buffer_load_dwordx4 a[28:31], v35, s[24:27], 0 offen offset:3072// 00000000366C: E05C1C00 80861C23
	buffer_load_dwordx4 a[32:35], v36, s[24:27], 0 offen       // 000000003674: E05C1000 80862024
	buffer_load_dwordx4 a[36:39], v36, s[24:27], 0 offen offset:1024// 00000000367C: E05C1400 80862424
	buffer_load_dwordx4 a[40:43], v36, s[24:27], 0 offen offset:2048// 000000003684: E05C1800 80862824
	buffer_load_dwordx4 a[44:47], v36, s[24:27], 0 offen offset:3072// 00000000368C: E05C1C00 80862C24
	buffer_load_dwordx4 a[48:51], v37, s[24:27], 0 offen       // 000000003694: E05C1000 80863025
	buffer_load_dwordx4 a[52:55], v37, s[24:27], 0 offen offset:1024// 00000000369C: E05C1400 80863425
	buffer_load_dwordx4 a[56:59], v37, s[24:27], 0 offen offset:2048// 0000000036A4: E05C1800 80863825
	buffer_load_dwordx4 a[60:63], v37, s[24:27], 0 offen offset:3072// 0000000036AC: E05C1C00 80863C25
	buffer_load_dwordx4 a[64:67], v38, s[24:27], 0 offen       // 0000000036B4: E05C1000 80864026
	buffer_load_dwordx4 a[68:71], v38, s[24:27], 0 offen offset:1024// 0000000036BC: E05C1400 80864426
	buffer_load_dwordx4 a[72:75], v38, s[24:27], 0 offen offset:2048// 0000000036C4: E05C1800 80864826
	buffer_load_dwordx4 a[76:79], v38, s[24:27], 0 offen offset:3072// 0000000036CC: E05C1C00 80864C26
	s_add_u32 s24, s58, s24                                    // 0000000036D4: 8018183A
	s_addc_u32 s25, 0, s25                                     // 0000000036D8: 82191980
	v_mov_b32_e32 v128, 0                                      // 0000000036DC: 7F000280
	v_mov_b32_e32 v64, 0                                       // 0000000036E0: 7E800280
	v_mov_b32_e32 v129, 0                                      // 0000000036E4: 7F020280
	v_mov_b32_e32 v65, 0                                       // 0000000036E8: 7E820280
	v_mov_b32_e32 v130, 0                                      // 0000000036EC: 7F040280
	v_mov_b32_e32 v66, 0                                       // 0000000036F0: 7E840280
	v_mov_b32_e32 v131, 0                                      // 0000000036F4: 7F060280
	v_mov_b32_e32 v67, 0                                       // 0000000036F8: 7E860280
	v_mov_b32_e32 v132, 0                                      // 0000000036FC: 7F080280
	v_mov_b32_e32 v68, 0                                       // 000000003700: 7E880280
	v_mov_b32_e32 v133, 0                                      // 000000003704: 7F0A0280
	v_mov_b32_e32 v69, 0                                       // 000000003708: 7E8A0280
	v_mov_b32_e32 v134, 0                                      // 00000000370C: 7F0C0280
	v_mov_b32_e32 v70, 0                                       // 000000003710: 7E8C0280
	v_mov_b32_e32 v135, 0                                      // 000000003714: 7F0E0280
	v_mov_b32_e32 v71, 0                                       // 000000003718: 7E8E0280
	v_mov_b32_e32 v136, 0                                      // 00000000371C: 7F100280
	v_mov_b32_e32 v72, 0                                       // 000000003720: 7E900280
	v_mov_b32_e32 v137, 0                                      // 000000003724: 7F120280
	v_mov_b32_e32 v73, 0                                       // 000000003728: 7E920280
	v_mov_b32_e32 v138, 0                                      // 00000000372C: 7F140280
	v_mov_b32_e32 v74, 0                                       // 000000003730: 7E940280
	v_mov_b32_e32 v139, 0                                      // 000000003734: 7F160280
	v_mov_b32_e32 v75, 0                                       // 000000003738: 7E960280
	v_mov_b32_e32 v140, 0                                      // 00000000373C: 7F180280
	v_mov_b32_e32 v76, 0                                       // 000000003740: 7E980280
	v_mov_b32_e32 v141, 0                                      // 000000003744: 7F1A0280
	v_mov_b32_e32 v77, 0                                       // 000000003748: 7E9A0280
	v_mov_b32_e32 v142, 0                                      // 00000000374C: 7F1C0280
	v_mov_b32_e32 v78, 0                                       // 000000003750: 7E9C0280
	v_mov_b32_e32 v143, 0                                      // 000000003754: 7F1E0280
	v_mov_b32_e32 v79, 0                                       // 000000003758: 7E9E0280
	v_mov_b32_e32 v144, 0                                      // 00000000375C: 7F200280
	v_mov_b32_e32 v80, 0                                       // 000000003760: 7EA00280
	v_mov_b32_e32 v145, 0                                      // 000000003764: 7F220280
	v_mov_b32_e32 v81, 0                                       // 000000003768: 7EA20280
	v_mov_b32_e32 v146, 0                                      // 00000000376C: 7F240280
	v_mov_b32_e32 v82, 0                                       // 000000003770: 7EA40280
	v_mov_b32_e32 v147, 0                                      // 000000003774: 7F260280
	v_mov_b32_e32 v83, 0                                       // 000000003778: 7EA60280
	v_mov_b32_e32 v148, 0                                      // 00000000377C: 7F280280
	v_mov_b32_e32 v84, 0                                       // 000000003780: 7EA80280
	v_mov_b32_e32 v149, 0                                      // 000000003784: 7F2A0280
	v_mov_b32_e32 v85, 0                                       // 000000003788: 7EAA0280
	v_mov_b32_e32 v150, 0                                      // 00000000378C: 7F2C0280
	v_mov_b32_e32 v86, 0                                       // 000000003790: 7EAC0280
	v_mov_b32_e32 v151, 0                                      // 000000003794: 7F2E0280
	v_mov_b32_e32 v87, 0                                       // 000000003798: 7EAE0280
	v_mov_b32_e32 v152, 0                                      // 00000000379C: 7F300280
	v_mov_b32_e32 v88, 0                                       // 0000000037A0: 7EB00280
	v_mov_b32_e32 v153, 0                                      // 0000000037A4: 7F320280
	v_mov_b32_e32 v89, 0                                       // 0000000037A8: 7EB20280
	v_mov_b32_e32 v154, 0                                      // 0000000037AC: 7F340280
	v_mov_b32_e32 v90, 0                                       // 0000000037B0: 7EB40280
	v_mov_b32_e32 v155, 0                                      // 0000000037B4: 7F360280
	v_mov_b32_e32 v91, 0                                       // 0000000037B8: 7EB60280
	v_mov_b32_e32 v156, 0                                      // 0000000037BC: 7F380280
	v_mov_b32_e32 v92, 0                                       // 0000000037C0: 7EB80280
	v_mov_b32_e32 v157, 0                                      // 0000000037C4: 7F3A0280
	v_mov_b32_e32 v93, 0                                       // 0000000037C8: 7EBA0280
	v_mov_b32_e32 v158, 0                                      // 0000000037CC: 7F3C0280
	v_mov_b32_e32 v94, 0                                       // 0000000037D0: 7EBC0280
	v_mov_b32_e32 v159, 0                                      // 0000000037D4: 7F3E0280
	v_mov_b32_e32 v95, 0                                       // 0000000037D8: 7EBE0280
	v_mov_b32_e32 v160, 0                                      // 0000000037DC: 7F400280
	v_mov_b32_e32 v96, 0                                       // 0000000037E0: 7EC00280
	v_mov_b32_e32 v161, 0                                      // 0000000037E4: 7F420280
	v_mov_b32_e32 v97, 0                                       // 0000000037E8: 7EC20280
	v_mov_b32_e32 v162, 0                                      // 0000000037EC: 7F440280
	v_mov_b32_e32 v98, 0                                       // 0000000037F0: 7EC40280
	v_mov_b32_e32 v163, 0                                      // 0000000037F4: 7F460280
	v_mov_b32_e32 v99, 0                                       // 0000000037F8: 7EC60280
	v_mov_b32_e32 v164, 0                                      // 0000000037FC: 7F480280
	v_mov_b32_e32 v100, 0                                      // 000000003800: 7EC80280
	v_mov_b32_e32 v165, 0                                      // 000000003804: 7F4A0280
	v_mov_b32_e32 v101, 0                                      // 000000003808: 7ECA0280
	v_mov_b32_e32 v166, 0                                      // 00000000380C: 7F4C0280
	v_mov_b32_e32 v102, 0                                      // 000000003810: 7ECC0280
	v_mov_b32_e32 v167, 0                                      // 000000003814: 7F4E0280
	v_mov_b32_e32 v103, 0                                      // 000000003818: 7ECE0280
	v_lshrrev_b32_e32 v50, 4, v0                               // 00000000381C: 20640084
	v_mul_i32_i24_e32 v3, 34, v50                              // 000000003820: 0C0664A2
	v_and_b32_e32 v50, 15, v0                                  // 000000003824: 2664008F
	v_mul_i32_i24_e32 v51, 2, v50                              // 000000003828: 0C666482
	v_add_u32_e32 v3, v51, v3                                  // 00000000382C: 68060733
	s_mul_i32 s60, s7, 0x88                                    // 000000003830: 923CFF07 00000088
	v_add_u32_e32 v3, s60, v3                                  // 000000003838: 6806063C
	v_lshlrev_b32_e32 v3, 2, v3                                // 00000000383C: 24060682
	v_lshrrev_b32_e32 v50, 1, v0                               // 000000003840: 20640081
	v_mul_i32_i24_e32 v4, 34, v50                              // 000000003844: 0C0864A2
	v_and_b32_e32 v51, 1, v0                                   // 000000003848: 26660081
	v_add_u32_e32 v4, v51, v4                                  // 00000000384C: 68080933
	s_mul_i32 s60, s7, 2                                       // 000000003850: 923C8207
	v_add_u32_e32 v4, s60, v4                                  // 000000003854: 6808083C
	v_lshlrev_b32_e32 v4, 2, v4                                // 000000003858: 24080882
	s_waitcnt vmcnt(20)                                        // 00000000385C: BF8C4F74
	s_barrier                                                  // 000000003860: BF8A0000
	ds_read_b128 v[168:171], v2                                // 000000003864: D9FE0000 A8000002
	ds_read_b128 v[172:175], v2 offset:64                      // 00000000386C: D9FE0040 AC000002
	ds_read_b128 v[176:179], v2 offset:128                     // 000000003874: D9FE0080 B0000002
	ds_read_b128 v[180:183], v2 offset:192                     // 00000000387C: D9FE00C0 B4000002
	ds_read_b128 v[184:187], v2 offset:1024                    // 000000003884: D9FE0400 B8000002
	ds_read_b128 v[188:191], v2 offset:1088                    // 00000000388C: D9FE0440 BC000002
	ds_read_b128 v[192:195], v2 offset:1152                    // 000000003894: D9FE0480 C0000002
	ds_read_b128 v[196:199], v2 offset:1216                    // 00000000389C: D9FE04C0 C4000002
	s_cmp_lt_i32 s7, 2                                         // 0000000038A4: BF048207
	s_cbranch_scc0 label_1039                                  // 0000000038A8: BF840D8E

00000000000038ac <label_02AB>:
	s_waitcnt vmcnt(12) lgkmcnt(0)                             // 0000000038AC: BF8C007C
	s_barrier                                                  // 0000000038B0: BF8A0000
	v_mfma_f32_16x16x32_fp8_fp8 v[128:131], a[0:1], v[168:169], v[128:131]// 0000000038B4: D3F30080 0E035100
	v_mfma_f32_16x16x32_fp8_fp8 v[128:131], a[2:3], v[170:171], v[128:131]// 0000000038BC: D3F30080 0E035502
	buffer_load_dwordx4 a[80:83], v34, s[92:95], 0 offen       // 0000000038C4: E05C1000 80975022
	v_mfma_f32_16x16x32_fp8_fp8 v[128:131], a[4:5], v[172:173], v[128:131]// 0000000038CC: D3F30080 0E035904
	v_mfma_f32_16x16x32_fp8_fp8 v[128:131], a[6:7], v[174:175], v[128:131]// 0000000038D4: D3F30080 0E035D06
	buffer_load_dword v26, s[20:23], 0 offen lds               // 0000000038DC: E0511000 8005001A
	s_add_u32 m0, 0x100, s51                                   // 0000000038E4: 807C33FF 00000100
	v_mfma_f32_16x16x32_fp8_fp8 v[128:131], a[8:9], v[176:177], v[128:131]// 0000000038EC: D3F30080 0E036108
	v_mfma_f32_16x16x32_fp8_fp8 v[128:131], a[10:11], v[178:179], v[128:131]// 0000000038F4: D3F30080 0E03650A
	buffer_load_dwordx4 a[84:87], v34, s[92:95], 0 offen offset:1024// 0000000038FC: E05C1400 80975422
	v_mfma_f32_16x16x32_fp8_fp8 v[128:131], a[12:13], v[180:181], v[128:131]// 000000003904: D3F30080 0E03690C
	v_mfma_f32_16x16x32_fp8_fp8 v[128:131], a[14:15], v[182:183], v[128:131]// 00000000390C: D3F30080 0E036D0E
	buffer_load_dword v27, s[20:23], 0 offen lds               // 000000003914: E0511000 8005001B
	s_add_u32 m0, 0x200, s51                                   // 00000000391C: 807C33FF 00000200
	v_mfma_f32_16x16x32_fp8_fp8 v[132:135], a[0:1], v[184:185], v[132:135]// 000000003924: D3F30084 0E137100
	v_mfma_f32_16x16x32_fp8_fp8 v[132:135], a[2:3], v[186:187], v[132:135]// 00000000392C: D3F30084 0E137502
	buffer_load_dwordx4 a[88:91], v34, s[92:95], 0 offen offset:2048// 000000003934: E05C1800 80975822
	v_mfma_f32_16x16x32_fp8_fp8 v[132:135], a[4:5], v[188:189], v[132:135]// 00000000393C: D3F30084 0E137904
	v_mfma_f32_16x16x32_fp8_fp8 v[132:135], a[6:7], v[190:191], v[132:135]// 000000003944: D3F30084 0E137D06
	buffer_load_dword v28, s[20:23], 0 offen lds               // 00000000394C: E0511000 8005001C
	s_add_u32 m0, 0x300, s51                                   // 000000003954: 807C33FF 00000300
	v_mfma_f32_16x16x32_fp8_fp8 v[132:135], a[8:9], v[192:193], v[132:135]// 00000000395C: D3F30084 0E138108
	v_mfma_f32_16x16x32_fp8_fp8 v[132:135], a[10:11], v[194:195], v[132:135]// 000000003964: D3F30084 0E13850A
	buffer_load_dwordx4 a[92:95], v34, s[92:95], 0 offen offset:3072// 00000000396C: E05C1C00 80975C22
	v_mfma_f32_16x16x32_fp8_fp8 v[132:135], a[12:13], v[196:197], v[132:135]// 000000003974: D3F30084 0E13890C
	v_mfma_f32_16x16x32_fp8_fp8 v[132:135], a[14:15], v[198:199], v[132:135]// 00000000397C: D3F30084 0E138D0E
	buffer_load_dword v29, s[20:23], 0 offen lds               // 000000003984: E0511000 8005001D
	s_add_u32 m0, 0x400, s51                                   // 00000000398C: 807C33FF 00000400
	v_mfma_f32_16x16x32_fp8_fp8 v[136:139], a[16:17], v[168:169], v[136:139]// 000000003994: D3F30088 0E235110
	v_mfma_f32_16x16x32_fp8_fp8 v[136:139], a[18:19], v[170:171], v[136:139]// 00000000399C: D3F30088 0E235512
	buffer_load_dwordx4 a[96:99], v35, s[92:95], 0 offen       // 0000000039A4: E05C1000 80976023
	v_mfma_f32_16x16x32_fp8_fp8 v[136:139], a[20:21], v[172:173], v[136:139]// 0000000039AC: D3F30088 0E235914
	v_mfma_f32_16x16x32_fp8_fp8 v[136:139], a[22:23], v[174:175], v[136:139]// 0000000039B4: D3F30088 0E235D16
	buffer_load_dword v30, s[20:23], 0 offen lds               // 0000000039BC: E0511000 8005001E
	s_add_u32 m0, 0x500, s51                                   // 0000000039C4: 807C33FF 00000500
	v_mfma_f32_16x16x32_fp8_fp8 v[136:139], a[24:25], v[176:177], v[136:139]// 0000000039CC: D3F30088 0E236118
	v_mfma_f32_16x16x32_fp8_fp8 v[136:139], a[26:27], v[178:179], v[136:139]// 0000000039D4: D3F30088 0E23651A
	buffer_load_dwordx4 a[100:103], v35, s[92:95], 0 offen offset:1024// 0000000039DC: E05C1400 80976423
	v_mfma_f32_16x16x32_fp8_fp8 v[136:139], a[28:29], v[180:181], v[136:139]// 0000000039E4: D3F30088 0E23691C
	v_mfma_f32_16x16x32_fp8_fp8 v[136:139], a[30:31], v[182:183], v[136:139]// 0000000039EC: D3F30088 0E236D1E
	buffer_load_dword v31, s[20:23], 0 offen lds               // 0000000039F4: E0511000 8005001F
	s_add_u32 m0, 0x600, s51                                   // 0000000039FC: 807C33FF 00000600
	v_mfma_f32_16x16x32_fp8_fp8 v[140:143], a[16:17], v[184:185], v[140:143]// 000000003A04: D3F3008C 0E337110
	v_mfma_f32_16x16x32_fp8_fp8 v[140:143], a[18:19], v[186:187], v[140:143]// 000000003A0C: D3F3008C 0E337512
	buffer_load_dwordx4 a[104:107], v35, s[92:95], 0 offen offset:2048// 000000003A14: E05C1800 80976823
	v_mfma_f32_16x16x32_fp8_fp8 v[140:143], a[20:21], v[188:189], v[140:143]// 000000003A1C: D3F3008C 0E337914
	v_mfma_f32_16x16x32_fp8_fp8 v[140:143], a[22:23], v[190:191], v[140:143]// 000000003A24: D3F3008C 0E337D16
	buffer_load_dword v32, s[20:23], 0 offen lds               // 000000003A2C: E0511000 80050020
	s_add_u32 m0, 0x700, s51                                   // 000000003A34: 807C33FF 00000700
	v_mfma_f32_16x16x32_fp8_fp8 v[140:143], a[24:25], v[192:193], v[140:143]// 000000003A3C: D3F3008C 0E338118
	v_mfma_f32_16x16x32_fp8_fp8 v[140:143], a[26:27], v[194:195], v[140:143]// 000000003A44: D3F3008C 0E33851A
	buffer_load_dwordx4 a[108:111], v35, s[92:95], 0 offen offset:3072// 000000003A4C: E05C1C00 80976C23
	v_mfma_f32_16x16x32_fp8_fp8 v[140:143], a[28:29], v[196:197], v[140:143]// 000000003A54: D3F3008C 0E33891C
	v_mfma_f32_16x16x32_fp8_fp8 v[140:143], a[30:31], v[198:199], v[140:143]// 000000003A5C: D3F3008C 0E338D1E
	buffer_load_dword v33, s[20:23], 0 offen lds               // 000000003A64: E0511000 80050021
	s_add_u32 m0, 0, s50                                       // 000000003A6C: 807C3280
	s_waitcnt vmcnt(24)                                        // 000000003A70: BF8C4F78
	v_mfma_f32_16x16x32_fp8_fp8 v[144:147], a[32:33], v[168:169], v[144:147]// 000000003A74: D3F30090 0E435120
	v_mfma_f32_16x16x32_fp8_fp8 v[144:147], a[34:35], v[170:171], v[144:147]// 000000003A7C: D3F30090 0E435522
	buffer_load_dwordx4 a[112:115], v36, s[92:95], 0 offen     // 000000003A84: E05C1000 80977024
	v_mfma_f32_16x16x32_fp8_fp8 v[144:147], a[36:37], v[172:173], v[144:147]// 000000003A8C: D3F30090 0E435924
	v_mfma_f32_16x16x32_fp8_fp8 v[144:147], a[38:39], v[174:175], v[144:147]// 000000003A94: D3F30090 0E435D26
	v_mfma_f32_16x16x32_fp8_fp8 v[144:147], a[40:41], v[176:177], v[144:147]// 000000003A9C: D3F30090 0E436128
	v_mfma_f32_16x16x32_fp8_fp8 v[144:147], a[42:43], v[178:179], v[144:147]// 000000003AA4: D3F30090 0E43652A
	buffer_load_dwordx4 a[116:119], v36, s[92:95], 0 offen offset:1024// 000000003AAC: E05C1400 80977424
	v_mfma_f32_16x16x32_fp8_fp8 v[144:147], a[44:45], v[180:181], v[144:147]// 000000003AB4: D3F30090 0E43692C
	v_mfma_f32_16x16x32_fp8_fp8 v[144:147], a[46:47], v[182:183], v[144:147]// 000000003ABC: D3F30090 0E436D2E
	v_mfma_f32_16x16x32_fp8_fp8 v[148:151], a[32:33], v[184:185], v[148:151]// 000000003AC4: D3F30094 0E537120
	v_mfma_f32_16x16x32_fp8_fp8 v[148:151], a[34:35], v[186:187], v[148:151]// 000000003ACC: D3F30094 0E537522
	buffer_load_dwordx4 a[120:123], v36, s[92:95], 0 offen offset:2048// 000000003AD4: E05C1800 80977824
	v_mfma_f32_16x16x32_fp8_fp8 v[148:151], a[36:37], v[188:189], v[148:151]// 000000003ADC: D3F30094 0E537924
	v_mfma_f32_16x16x32_fp8_fp8 v[148:151], a[38:39], v[190:191], v[148:151]// 000000003AE4: D3F30094 0E537D26
	v_mfma_f32_16x16x32_fp8_fp8 v[148:151], a[40:41], v[192:193], v[148:151]// 000000003AEC: D3F30094 0E538128
	v_mfma_f32_16x16x32_fp8_fp8 v[148:151], a[42:43], v[194:195], v[148:151]// 000000003AF4: D3F30094 0E53852A
	buffer_load_dwordx4 a[124:127], v36, s[92:95], 0 offen offset:3072// 000000003AFC: E05C1C00 80977C24
	v_mfma_f32_16x16x32_fp8_fp8 v[148:151], a[44:45], v[196:197], v[148:151]// 000000003B04: D3F30094 0E53892C
	v_mfma_f32_16x16x32_fp8_fp8 v[148:151], a[46:47], v[198:199], v[148:151]// 000000003B0C: D3F30094 0E538D2E
	s_waitcnt vmcnt(24)                                        // 000000003B14: BF8C4F78
	v_mfma_f32_16x16x32_fp8_fp8 v[152:155], a[48:49], v[168:169], v[152:155]// 000000003B18: D3F30098 0E635130
	v_mfma_f32_16x16x32_fp8_fp8 v[152:155], a[50:51], v[170:171], v[152:155]// 000000003B20: D3F30098 0E635532
	buffer_load_dwordx4 a[128:131], v37, s[92:95], 0 offen     // 000000003B28: E05C1000 80978025
	v_mfma_f32_16x16x32_fp8_fp8 v[152:155], a[52:53], v[172:173], v[152:155]// 000000003B30: D3F30098 0E635934
	v_mfma_f32_16x16x32_fp8_fp8 v[152:155], a[54:55], v[174:175], v[152:155]// 000000003B38: D3F30098 0E635D36
	v_mfma_f32_16x16x32_fp8_fp8 v[152:155], a[56:57], v[176:177], v[152:155]// 000000003B40: D3F30098 0E636138
	v_mfma_f32_16x16x32_fp8_fp8 v[152:155], a[58:59], v[178:179], v[152:155]// 000000003B48: D3F30098 0E63653A
	buffer_load_dwordx4 a[132:135], v37, s[92:95], 0 offen offset:1024// 000000003B50: E05C1400 80978425
	v_mfma_f32_16x16x32_fp8_fp8 v[152:155], a[60:61], v[180:181], v[152:155]// 000000003B58: D3F30098 0E63693C
	v_mfma_f32_16x16x32_fp8_fp8 v[152:155], a[62:63], v[182:183], v[152:155]// 000000003B60: D3F30098 0E636D3E
	v_mfma_f32_16x16x32_fp8_fp8 v[156:159], a[48:49], v[184:185], v[156:159]// 000000003B68: D3F3009C 0E737130
	v_mfma_f32_16x16x32_fp8_fp8 v[156:159], a[50:51], v[186:187], v[156:159]// 000000003B70: D3F3009C 0E737532
	buffer_load_dwordx4 a[136:139], v37, s[92:95], 0 offen offset:2048// 000000003B78: E05C1800 80978825
	v_mfma_f32_16x16x32_fp8_fp8 v[156:159], a[52:53], v[188:189], v[156:159]// 000000003B80: D3F3009C 0E737934
	v_mfma_f32_16x16x32_fp8_fp8 v[156:159], a[54:55], v[190:191], v[156:159]// 000000003B88: D3F3009C 0E737D36
	v_mfma_f32_16x16x32_fp8_fp8 v[156:159], a[56:57], v[192:193], v[156:159]// 000000003B90: D3F3009C 0E738138
	v_mfma_f32_16x16x32_fp8_fp8 v[156:159], a[58:59], v[194:195], v[156:159]// 000000003B98: D3F3009C 0E73853A
	buffer_load_dwordx4 a[140:143], v37, s[92:95], 0 offen offset:3072// 000000003BA0: E05C1C00 80978C25
	v_mfma_f32_16x16x32_fp8_fp8 v[156:159], a[60:61], v[196:197], v[156:159]// 000000003BA8: D3F3009C 0E73893C
	v_mfma_f32_16x16x32_fp8_fp8 v[156:159], a[62:63], v[198:199], v[156:159]// 000000003BB0: D3F3009C 0E738D3E
	s_waitcnt vmcnt(24)                                        // 000000003BB8: BF8C4F78
	v_mfma_f32_16x16x32_fp8_fp8 v[160:163], a[64:65], v[168:169], v[160:163]// 000000003BBC: D3F300A0 0E835140
	v_mfma_f32_16x16x32_fp8_fp8 v[160:163], a[66:67], v[170:171], v[160:163]// 000000003BC4: D3F300A0 0E835542
	buffer_load_dwordx4 a[144:147], v38, s[92:95], 0 offen     // 000000003BCC: E05C1000 80979026
	v_mfma_f32_16x16x32_fp8_fp8 v[160:163], a[68:69], v[172:173], v[160:163]// 000000003BD4: D3F300A0 0E835944
	v_mfma_f32_16x16x32_fp8_fp8 v[160:163], a[70:71], v[174:175], v[160:163]// 000000003BDC: D3F300A0 0E835D46
	v_mfma_f32_16x16x32_fp8_fp8 v[160:163], a[72:73], v[176:177], v[160:163]// 000000003BE4: D3F300A0 0E836148
	v_mfma_f32_16x16x32_fp8_fp8 v[160:163], a[74:75], v[178:179], v[160:163]// 000000003BEC: D3F300A0 0E83654A
	buffer_load_dwordx4 a[148:151], v38, s[92:95], 0 offen offset:1024// 000000003BF4: E05C1400 80979426
	v_mfma_f32_16x16x32_fp8_fp8 v[160:163], a[76:77], v[180:181], v[160:163]// 000000003BFC: D3F300A0 0E83694C
	v_mfma_f32_16x16x32_fp8_fp8 v[160:163], a[78:79], v[182:183], v[160:163]// 000000003C04: D3F300A0 0E836D4E
	v_mfma_f32_16x16x32_fp8_fp8 v[164:167], a[64:65], v[184:185], v[164:167]// 000000003C0C: D3F300A4 0E937140
	v_mfma_f32_16x16x32_fp8_fp8 v[164:167], a[66:67], v[186:187], v[164:167]// 000000003C14: D3F300A4 0E937542
	buffer_load_dwordx4 a[152:155], v38, s[92:95], 0 offen offset:2048// 000000003C1C: E05C1800 80979826
	v_mfma_f32_16x16x32_fp8_fp8 v[164:167], a[68:69], v[188:189], v[164:167]// 000000003C24: D3F300A4 0E937944
	v_mfma_f32_16x16x32_fp8_fp8 v[164:167], a[70:71], v[190:191], v[164:167]// 000000003C2C: D3F300A4 0E937D46
	v_mfma_f32_16x16x32_fp8_fp8 v[164:167], a[72:73], v[192:193], v[164:167]// 000000003C34: D3F300A4 0E938148
	v_mfma_f32_16x16x32_fp8_fp8 v[164:167], a[74:75], v[194:195], v[164:167]// 000000003C3C: D3F300A4 0E93854A
	buffer_load_dwordx4 a[156:159], v38, s[92:95], 0 offen offset:3072// 000000003C44: E05C1C00 80979C26
	v_mfma_f32_16x16x32_fp8_fp8 v[164:167], a[76:77], v[196:197], v[164:167]// 000000003C4C: D3F300A4 0E93894C
	v_mfma_f32_16x16x32_fp8_fp8 v[164:167], a[78:79], v[198:199], v[164:167]// 000000003C54: D3F300A4 0E938D4E
	s_waitcnt vmcnt(12)                                        // 000000003C5C: BF8C0F7C
	s_barrier                                                  // 000000003C60: BF8A0000
	v_mfma_f32_16x16x32_fp8_fp8 v[64:67], a[80:81], v[168:169], v[64:67]// 000000003C64: D3F30040 0D035150
	v_mfma_f32_16x16x32_fp8_fp8 v[64:67], a[82:83], v[170:171], v[64:67]// 000000003C6C: D3F30040 0D035552
	buffer_load_dwordx4 a[0:3], v34, s[24:27], 0 offen         // 000000003C74: E05C1000 80860022
	v_mfma_f32_16x16x32_fp8_fp8 v[64:67], a[84:85], v[172:173], v[64:67]// 000000003C7C: D3F30040 0D035954
	v_mfma_f32_16x16x32_fp8_fp8 v[64:67], a[86:87], v[174:175], v[64:67]// 000000003C84: D3F30040 0D035D56
	v_mfma_f32_16x16x32_fp8_fp8 v[64:67], a[88:89], v[176:177], v[64:67]// 000000003C8C: D3F30040 0D036158
	v_mfma_f32_16x16x32_fp8_fp8 v[64:67], a[90:91], v[178:179], v[64:67]// 000000003C94: D3F30040 0D03655A
	buffer_load_dwordx4 a[4:7], v34, s[24:27], 0 offen offset:1024// 000000003C9C: E05C1400 80860422
	v_mfma_f32_16x16x32_fp8_fp8 v[64:67], a[92:93], v[180:181], v[64:67]// 000000003CA4: D3F30040 0D03695C
	v_mfma_f32_16x16x32_fp8_fp8 v[64:67], a[94:95], v[182:183], v[64:67]// 000000003CAC: D3F30040 0D036D5E
	v_mfma_f32_16x16x32_fp8_fp8 v[68:71], a[80:81], v[184:185], v[68:71]// 000000003CB4: D3F30044 0D137150
	v_mfma_f32_16x16x32_fp8_fp8 v[68:71], a[82:83], v[186:187], v[68:71]// 000000003CBC: D3F30044 0D137552
	buffer_load_dwordx4 a[8:11], v34, s[24:27], 0 offen offset:2048// 000000003CC4: E05C1800 80860822
	v_mfma_f32_16x16x32_fp8_fp8 v[68:71], a[84:85], v[188:189], v[68:71]// 000000003CCC: D3F30044 0D137954
	v_mfma_f32_16x16x32_fp8_fp8 v[68:71], a[86:87], v[190:191], v[68:71]// 000000003CD4: D3F30044 0D137D56
	v_mfma_f32_16x16x32_fp8_fp8 v[68:71], a[88:89], v[192:193], v[68:71]// 000000003CDC: D3F30044 0D138158
	v_mfma_f32_16x16x32_fp8_fp8 v[68:71], a[90:91], v[194:195], v[68:71]// 000000003CE4: D3F30044 0D13855A
	buffer_load_dwordx4 a[12:15], v34, s[24:27], 0 offen offset:3072// 000000003CEC: E05C1C00 80860C22
	v_mfma_f32_16x16x32_fp8_fp8 v[68:71], a[92:93], v[196:197], v[68:71]// 000000003CF4: D3F30044 0D13895C
	v_mfma_f32_16x16x32_fp8_fp8 v[68:71], a[94:95], v[198:199], v[68:71]// 000000003CFC: D3F30044 0D138D5E
	v_mfma_f32_16x16x32_fp8_fp8 v[72:75], a[96:97], v[168:169], v[72:75]// 000000003D04: D3F30048 0D235160
	v_mfma_f32_16x16x32_fp8_fp8 v[72:75], a[98:99], v[170:171], v[72:75]// 000000003D0C: D3F30048 0D235562
	buffer_load_dwordx4 a[16:19], v35, s[24:27], 0 offen       // 000000003D14: E05C1000 80861023
	v_mfma_f32_16x16x32_fp8_fp8 v[72:75], a[100:101], v[172:173], v[72:75]// 000000003D1C: D3F30048 0D235964
	v_mfma_f32_16x16x32_fp8_fp8 v[72:75], a[102:103], v[174:175], v[72:75]// 000000003D24: D3F30048 0D235D66
	v_mfma_f32_16x16x32_fp8_fp8 v[72:75], a[104:105], v[176:177], v[72:75]// 000000003D2C: D3F30048 0D236168
	v_mfma_f32_16x16x32_fp8_fp8 v[72:75], a[106:107], v[178:179], v[72:75]// 000000003D34: D3F30048 0D23656A
	buffer_load_dwordx4 a[20:23], v35, s[24:27], 0 offen offset:1024// 000000003D3C: E05C1400 80861423
	v_mfma_f32_16x16x32_fp8_fp8 v[72:75], a[108:109], v[180:181], v[72:75]// 000000003D44: D3F30048 0D23696C
	v_mfma_f32_16x16x32_fp8_fp8 v[72:75], a[110:111], v[182:183], v[72:75]// 000000003D4C: D3F30048 0D236D6E
	v_mfma_f32_16x16x32_fp8_fp8 v[76:79], a[96:97], v[184:185], v[76:79]// 000000003D54: D3F3004C 0D337160
	v_mfma_f32_16x16x32_fp8_fp8 v[76:79], a[98:99], v[186:187], v[76:79]// 000000003D5C: D3F3004C 0D337562
	buffer_load_dwordx4 a[24:27], v35, s[24:27], 0 offen offset:2048// 000000003D64: E05C1800 80861823
	v_mfma_f32_16x16x32_fp8_fp8 v[76:79], a[100:101], v[188:189], v[76:79]// 000000003D6C: D3F3004C 0D337964
	v_mfma_f32_16x16x32_fp8_fp8 v[76:79], a[102:103], v[190:191], v[76:79]// 000000003D74: D3F3004C 0D337D66
	v_mfma_f32_16x16x32_fp8_fp8 v[76:79], a[104:105], v[192:193], v[76:79]// 000000003D7C: D3F3004C 0D338168
	v_mfma_f32_16x16x32_fp8_fp8 v[76:79], a[106:107], v[194:195], v[76:79]// 000000003D84: D3F3004C 0D33856A
	buffer_load_dwordx4 a[28:31], v35, s[24:27], 0 offen offset:3072// 000000003D8C: E05C1C00 80861C23
	v_mfma_f32_16x16x32_fp8_fp8 v[76:79], a[108:109], v[196:197], v[76:79]// 000000003D94: D3F3004C 0D33896C
	v_mfma_f32_16x16x32_fp8_fp8 v[76:79], a[110:111], v[198:199], v[76:79]// 000000003D9C: D3F3004C 0D338D6E
	s_waitcnt vmcnt(16)                                        // 000000003DA4: BF8C4F70
	v_mfma_f32_16x16x32_fp8_fp8 v[80:83], a[112:113], v[168:169], v[80:83]// 000000003DA8: D3F30050 0D435170
	v_mfma_f32_16x16x32_fp8_fp8 v[80:83], a[114:115], v[170:171], v[80:83]// 000000003DB0: D3F30050 0D435572
	buffer_load_dwordx4 a[32:35], v36, s[24:27], 0 offen       // 000000003DB8: E05C1000 80862024
	v_mfma_f32_16x16x32_fp8_fp8 v[80:83], a[116:117], v[172:173], v[80:83]// 000000003DC0: D3F30050 0D435974
	v_mfma_f32_16x16x32_fp8_fp8 v[80:83], a[118:119], v[174:175], v[80:83]// 000000003DC8: D3F30050 0D435D76
	ds_read_b128 v[200:203], v2 offset:8320                    // 000000003DD0: D9FE2080 C8000002
	v_mfma_f32_16x16x32_fp8_fp8 v[80:83], a[120:121], v[176:177], v[80:83]// 000000003DD8: D3F30050 0D436178
	v_mfma_f32_16x16x32_fp8_fp8 v[80:83], a[122:123], v[178:179], v[80:83]// 000000003DE0: D3F30050 0D43657A
	buffer_load_dwordx4 a[36:39], v36, s[24:27], 0 offen offset:1024// 000000003DE8: E05C1400 80862424
	v_mfma_f32_16x16x32_fp8_fp8 v[80:83], a[124:125], v[180:181], v[80:83]// 000000003DF0: D3F30050 0D43697C
	v_mfma_f32_16x16x32_fp8_fp8 v[80:83], a[126:127], v[182:183], v[80:83]// 000000003DF8: D3F30050 0D436D7E
	ds_read_b128 v[204:207], v2 offset:8384                    // 000000003E00: D9FE20C0 CC000002
	v_mfma_f32_16x16x32_fp8_fp8 v[84:87], a[112:113], v[184:185], v[84:87]// 000000003E08: D3F30054 0D537170
	v_mfma_f32_16x16x32_fp8_fp8 v[84:87], a[114:115], v[186:187], v[84:87]// 000000003E10: D3F30054 0D537572
	buffer_load_dwordx4 a[40:43], v36, s[24:27], 0 offen offset:2048// 000000003E18: E05C1800 80862824
	v_mfma_f32_16x16x32_fp8_fp8 v[84:87], a[116:117], v[188:189], v[84:87]// 000000003E20: D3F30054 0D537974
	v_mfma_f32_16x16x32_fp8_fp8 v[84:87], a[118:119], v[190:191], v[84:87]// 000000003E28: D3F30054 0D537D76
	ds_read_b128 v[208:211], v2 offset:8448                    // 000000003E30: D9FE2100 D0000002
	v_mfma_f32_16x16x32_fp8_fp8 v[84:87], a[120:121], v[192:193], v[84:87]// 000000003E38: D3F30054 0D538178
	v_mfma_f32_16x16x32_fp8_fp8 v[84:87], a[122:123], v[194:195], v[84:87]// 000000003E40: D3F30054 0D53857A
	buffer_load_dwordx4 a[44:47], v36, s[24:27], 0 offen offset:3072// 000000003E48: E05C1C00 80862C24
	v_mfma_f32_16x16x32_fp8_fp8 v[84:87], a[124:125], v[196:197], v[84:87]// 000000003E50: D3F30054 0D53897C
	v_mfma_f32_16x16x32_fp8_fp8 v[84:87], a[126:127], v[198:199], v[84:87]// 000000003E58: D3F30054 0D538D7E
	ds_read_b128 v[212:215], v2 offset:8512                    // 000000003E60: D9FE2140 D4000002
	s_waitcnt vmcnt(16)                                        // 000000003E68: BF8C4F70
	v_mfma_f32_16x16x32_fp8_fp8 v[88:91], a[128:129], v[168:169], v[88:91]// 000000003E6C: D3F30058 0D635180
	v_mfma_f32_16x16x32_fp8_fp8 v[88:91], a[130:131], v[170:171], v[88:91]// 000000003E74: D3F30058 0D635582
	buffer_load_dwordx4 a[48:51], v37, s[24:27], 0 offen       // 000000003E7C: E05C1000 80863025
	v_mfma_f32_16x16x32_fp8_fp8 v[88:91], a[132:133], v[172:173], v[88:91]// 000000003E84: D3F30058 0D635984
	v_mfma_f32_16x16x32_fp8_fp8 v[88:91], a[134:135], v[174:175], v[88:91]// 000000003E8C: D3F30058 0D635D86
	ds_read_b128 v[216:219], v2 offset:9344                    // 000000003E94: D9FE2480 D8000002
	v_mfma_f32_16x16x32_fp8_fp8 v[88:91], a[136:137], v[176:177], v[88:91]// 000000003E9C: D3F30058 0D636188
	v_mfma_f32_16x16x32_fp8_fp8 v[88:91], a[138:139], v[178:179], v[88:91]// 000000003EA4: D3F30058 0D63658A
	buffer_load_dwordx4 a[52:55], v37, s[24:27], 0 offen offset:1024// 000000003EAC: E05C1400 80863425
	v_mfma_f32_16x16x32_fp8_fp8 v[88:91], a[140:141], v[180:181], v[88:91]// 000000003EB4: D3F30058 0D63698C
	v_mfma_f32_16x16x32_fp8_fp8 v[88:91], a[142:143], v[182:183], v[88:91]// 000000003EBC: D3F30058 0D636D8E
	ds_read_b128 v[220:223], v2 offset:9408                    // 000000003EC4: D9FE24C0 DC000002
	v_mfma_f32_16x16x32_fp8_fp8 v[92:95], a[128:129], v[184:185], v[92:95]// 000000003ECC: D3F3005C 0D737180
	v_mfma_f32_16x16x32_fp8_fp8 v[92:95], a[130:131], v[186:187], v[92:95]// 000000003ED4: D3F3005C 0D737582
	buffer_load_dwordx4 a[56:59], v37, s[24:27], 0 offen offset:2048// 000000003EDC: E05C1800 80863825
	v_mfma_f32_16x16x32_fp8_fp8 v[92:95], a[132:133], v[188:189], v[92:95]// 000000003EE4: D3F3005C 0D737984
	v_mfma_f32_16x16x32_fp8_fp8 v[92:95], a[134:135], v[190:191], v[92:95]// 000000003EEC: D3F3005C 0D737D86
	ds_read_b128 v[224:227], v2 offset:9472                    // 000000003EF4: D9FE2500 E0000002
	v_mfma_f32_16x16x32_fp8_fp8 v[92:95], a[136:137], v[192:193], v[92:95]// 000000003EFC: D3F3005C 0D738188
	v_mfma_f32_16x16x32_fp8_fp8 v[92:95], a[138:139], v[194:195], v[92:95]// 000000003F04: D3F3005C 0D73858A
	buffer_load_dwordx4 a[60:63], v37, s[24:27], 0 offen offset:3072// 000000003F0C: E05C1C00 80863C25
	v_mfma_f32_16x16x32_fp8_fp8 v[92:95], a[140:141], v[196:197], v[92:95]// 000000003F14: D3F3005C 0D73898C
	v_mfma_f32_16x16x32_fp8_fp8 v[92:95], a[142:143], v[198:199], v[92:95]// 000000003F1C: D3F3005C 0D738D8E
	ds_read_b128 v[228:231], v2 offset:9536                    // 000000003F24: D9FE2540 E4000002
	s_waitcnt vmcnt(16)                                        // 000000003F2C: BF8C4F70
	v_mfma_f32_16x16x32_fp8_fp8 v[96:99], a[144:145], v[168:169], v[96:99]// 000000003F30: D3F30060 0D835190
	v_mfma_f32_16x16x32_fp8_fp8 v[96:99], a[146:147], v[170:171], v[96:99]// 000000003F38: D3F30060 0D835592
	buffer_load_dwordx4 a[64:67], v38, s[24:27], 0 offen       // 000000003F40: E05C1000 80864026
	v_mfma_f32_16x16x32_fp8_fp8 v[96:99], a[148:149], v[172:173], v[96:99]// 000000003F48: D3F30060 0D835994
	v_mfma_f32_16x16x32_fp8_fp8 v[96:99], a[150:151], v[174:175], v[96:99]// 000000003F50: D3F30060 0D835D96
	v_mfma_f32_16x16x32_fp8_fp8 v[96:99], a[152:153], v[176:177], v[96:99]// 000000003F58: D3F30060 0D836198
	v_mfma_f32_16x16x32_fp8_fp8 v[96:99], a[154:155], v[178:179], v[96:99]// 000000003F60: D3F30060 0D83659A
	buffer_load_dwordx4 a[68:71], v38, s[24:27], 0 offen offset:1024// 000000003F68: E05C1400 80864426
	v_mfma_f32_16x16x32_fp8_fp8 v[96:99], a[156:157], v[180:181], v[96:99]// 000000003F70: D3F30060 0D83699C
	v_mfma_f32_16x16x32_fp8_fp8 v[96:99], a[158:159], v[182:183], v[96:99]// 000000003F78: D3F30060 0D836D9E
	v_mfma_f32_16x16x32_fp8_fp8 v[100:103], a[144:145], v[184:185], v[100:103]// 000000003F80: D3F30064 0D937190
	v_mfma_f32_16x16x32_fp8_fp8 v[100:103], a[146:147], v[186:187], v[100:103]// 000000003F88: D3F30064 0D937592
	buffer_load_dwordx4 a[72:75], v38, s[24:27], 0 offen offset:2048// 000000003F90: E05C1800 80864826
	v_mfma_f32_16x16x32_fp8_fp8 v[100:103], a[148:149], v[188:189], v[100:103]// 000000003F98: D3F30064 0D937994
	v_mfma_f32_16x16x32_fp8_fp8 v[100:103], a[150:151], v[190:191], v[100:103]// 000000003FA0: D3F30064 0D937D96
	v_mfma_f32_16x16x32_fp8_fp8 v[100:103], a[152:153], v[192:193], v[100:103]// 000000003FA8: D3F30064 0D938198
	v_mfma_f32_16x16x32_fp8_fp8 v[100:103], a[154:155], v[194:195], v[100:103]// 000000003FB0: D3F30064 0D93859A
	buffer_load_dwordx4 a[76:79], v38, s[24:27], 0 offen offset:3072// 000000003FB8: E05C1C00 80864C26
	v_mfma_f32_16x16x32_fp8_fp8 v[100:103], a[156:157], v[196:197], v[100:103]// 000000003FC0: D3F30064 0D93899C
	v_mfma_f32_16x16x32_fp8_fp8 v[100:103], a[158:159], v[198:199], v[100:103]// 000000003FC8: D3F30064 0D938D9E
	s_add_u32 s60, 0x200, s80                                  // 000000003FD0: 803C50FF 00000200
	s_cmp_lt_u32 s60, s81                                      // 000000003FD8: BF0A513C
	s_cselect_b32 s57, s57, 0                                  // 000000003FDC: 85398039
	s_add_u32 s60, 0x200, s80                                  // 000000003FE0: 803C50FF 00000200
	s_cmp_lt_u32 s60, s81                                      // 000000003FE8: BF0A513C
	s_cselect_b32 s58, s58, 0                                  // 000000003FEC: 853A803A
	s_add_u32 s20, s57, s20                                    // 000000003FF0: 80141439
	s_addc_u32 s21, 0, s21                                     // 000000003FF4: 82151580
	s_add_u32 s24, s58, s24                                    // 000000003FF8: 8018183A
	s_addc_u32 s25, 0, s25                                     // 000000003FFC: 82191980
	s_add_u32 s92, s90, s92                                    // 000000004000: 805C5C5A
	s_addc_u32 s93, 0, s93                                     // 000000004004: 825D5D80
	s_addk_i32 s80, 0x100                                      // 000000004008: B7500100
	s_cmp_lt_i32 s80, s81                                      // 00000000400C: BF045150
	s_cbranch_scc0 label_0660                                  // 000000004010: BF8401DB
	s_waitcnt vmcnt(12) lgkmcnt(0)                             // 000000004014: BF8C007C
	s_barrier                                                  // 000000004018: BF8A0000
	v_mfma_f32_16x16x32_fp8_fp8 v[128:131], a[0:1], v[200:201], v[128:131]// 00000000401C: D3F30080 0E039100
	v_mfma_f32_16x16x32_fp8_fp8 v[128:131], a[2:3], v[202:203], v[128:131]// 000000004024: D3F30080 0E039502
	buffer_load_dwordx4 a[80:83], v34, s[92:95], 0 offen       // 00000000402C: E05C1000 80975022
	v_mfma_f32_16x16x32_fp8_fp8 v[128:131], a[4:5], v[204:205], v[128:131]// 000000004034: D3F30080 0E039904
	v_mfma_f32_16x16x32_fp8_fp8 v[128:131], a[6:7], v[206:207], v[128:131]// 00000000403C: D3F30080 0E039D06
	buffer_load_dword v26, s[20:23], 0 offen lds               // 000000004044: E0511000 8005001A
	s_add_u32 m0, 0x100, s50                                   // 00000000404C: 807C32FF 00000100
	v_mfma_f32_16x16x32_fp8_fp8 v[128:131], a[8:9], v[208:209], v[128:131]// 000000004054: D3F30080 0E03A108
	v_mfma_f32_16x16x32_fp8_fp8 v[128:131], a[10:11], v[210:211], v[128:131]// 00000000405C: D3F30080 0E03A50A
	buffer_load_dwordx4 a[84:87], v34, s[92:95], 0 offen offset:1024// 000000004064: E05C1400 80975422
	v_mfma_f32_16x16x32_fp8_fp8 v[128:131], a[12:13], v[212:213], v[128:131]// 00000000406C: D3F30080 0E03A90C
	v_mfma_f32_16x16x32_fp8_fp8 v[128:131], a[14:15], v[214:215], v[128:131]// 000000004074: D3F30080 0E03AD0E
	buffer_load_dword v27, s[20:23], 0 offen lds               // 00000000407C: E0511000 8005001B
	s_add_u32 m0, 0x200, s50                                   // 000000004084: 807C32FF 00000200
	v_mfma_f32_16x16x32_fp8_fp8 v[132:135], a[0:1], v[216:217], v[132:135]// 00000000408C: D3F30084 0E13B100
	v_mfma_f32_16x16x32_fp8_fp8 v[132:135], a[2:3], v[218:219], v[132:135]// 000000004094: D3F30084 0E13B502
	buffer_load_dwordx4 a[88:91], v34, s[92:95], 0 offen offset:2048// 00000000409C: E05C1800 80975822
	v_mfma_f32_16x16x32_fp8_fp8 v[132:135], a[4:5], v[220:221], v[132:135]// 0000000040A4: D3F30084 0E13B904
	v_mfma_f32_16x16x32_fp8_fp8 v[132:135], a[6:7], v[222:223], v[132:135]// 0000000040AC: D3F30084 0E13BD06
	buffer_load_dword v28, s[20:23], 0 offen lds               // 0000000040B4: E0511000 8005001C
	s_add_u32 m0, 0x300, s50                                   // 0000000040BC: 807C32FF 00000300
	v_mfma_f32_16x16x32_fp8_fp8 v[132:135], a[8:9], v[224:225], v[132:135]// 0000000040C4: D3F30084 0E13C108
	v_mfma_f32_16x16x32_fp8_fp8 v[132:135], a[10:11], v[226:227], v[132:135]// 0000000040CC: D3F30084 0E13C50A
	buffer_load_dwordx4 a[92:95], v34, s[92:95], 0 offen offset:3072// 0000000040D4: E05C1C00 80975C22
	v_mfma_f32_16x16x32_fp8_fp8 v[132:135], a[12:13], v[228:229], v[132:135]// 0000000040DC: D3F30084 0E13C90C
	v_mfma_f32_16x16x32_fp8_fp8 v[132:135], a[14:15], v[230:231], v[132:135]// 0000000040E4: D3F30084 0E13CD0E
	buffer_load_dword v29, s[20:23], 0 offen lds               // 0000000040EC: E0511000 8005001D
	s_add_u32 m0, 0x400, s50                                   // 0000000040F4: 807C32FF 00000400
	v_mfma_f32_16x16x32_fp8_fp8 v[136:139], a[16:17], v[200:201], v[136:139]// 0000000040FC: D3F30088 0E239110
	v_mfma_f32_16x16x32_fp8_fp8 v[136:139], a[18:19], v[202:203], v[136:139]// 000000004104: D3F30088 0E239512
	buffer_load_dwordx4 a[96:99], v35, s[92:95], 0 offen       // 00000000410C: E05C1000 80976023
	v_mfma_f32_16x16x32_fp8_fp8 v[136:139], a[20:21], v[204:205], v[136:139]// 000000004114: D3F30088 0E239914
	v_mfma_f32_16x16x32_fp8_fp8 v[136:139], a[22:23], v[206:207], v[136:139]// 00000000411C: D3F30088 0E239D16
	buffer_load_dword v30, s[20:23], 0 offen lds               // 000000004124: E0511000 8005001E
	s_add_u32 m0, 0x500, s50                                   // 00000000412C: 807C32FF 00000500
	v_mfma_f32_16x16x32_fp8_fp8 v[136:139], a[24:25], v[208:209], v[136:139]// 000000004134: D3F30088 0E23A118
	v_mfma_f32_16x16x32_fp8_fp8 v[136:139], a[26:27], v[210:211], v[136:139]// 00000000413C: D3F30088 0E23A51A
	buffer_load_dwordx4 a[100:103], v35, s[92:95], 0 offen offset:1024// 000000004144: E05C1400 80976423
	v_mfma_f32_16x16x32_fp8_fp8 v[136:139], a[28:29], v[212:213], v[136:139]// 00000000414C: D3F30088 0E23A91C
	v_mfma_f32_16x16x32_fp8_fp8 v[136:139], a[30:31], v[214:215], v[136:139]// 000000004154: D3F30088 0E23AD1E
	buffer_load_dword v31, s[20:23], 0 offen lds               // 00000000415C: E0511000 8005001F
	s_add_u32 m0, 0x600, s50                                   // 000000004164: 807C32FF 00000600
	v_mfma_f32_16x16x32_fp8_fp8 v[140:143], a[16:17], v[216:217], v[140:143]// 00000000416C: D3F3008C 0E33B110
	v_mfma_f32_16x16x32_fp8_fp8 v[140:143], a[18:19], v[218:219], v[140:143]// 000000004174: D3F3008C 0E33B512
	buffer_load_dwordx4 a[104:107], v35, s[92:95], 0 offen offset:2048// 00000000417C: E05C1800 80976823
	v_mfma_f32_16x16x32_fp8_fp8 v[140:143], a[20:21], v[220:221], v[140:143]// 000000004184: D3F3008C 0E33B914
	v_mfma_f32_16x16x32_fp8_fp8 v[140:143], a[22:23], v[222:223], v[140:143]// 00000000418C: D3F3008C 0E33BD16
	buffer_load_dword v32, s[20:23], 0 offen lds               // 000000004194: E0511000 80050020
	s_add_u32 m0, 0x700, s50                                   // 00000000419C: 807C32FF 00000700
	v_mfma_f32_16x16x32_fp8_fp8 v[140:143], a[24:25], v[224:225], v[140:143]// 0000000041A4: D3F3008C 0E33C118
	v_mfma_f32_16x16x32_fp8_fp8 v[140:143], a[26:27], v[226:227], v[140:143]// 0000000041AC: D3F3008C 0E33C51A
	buffer_load_dwordx4 a[108:111], v35, s[92:95], 0 offen offset:3072// 0000000041B4: E05C1C00 80976C23
	v_mfma_f32_16x16x32_fp8_fp8 v[140:143], a[28:29], v[228:229], v[140:143]// 0000000041BC: D3F3008C 0E33C91C
	v_mfma_f32_16x16x32_fp8_fp8 v[140:143], a[30:31], v[230:231], v[140:143]// 0000000041C4: D3F3008C 0E33CD1E
	buffer_load_dword v33, s[20:23], 0 offen lds               // 0000000041CC: E0511000 80050021
	s_add_u32 m0, 0, s51                                       // 0000000041D4: 807C3380
	s_waitcnt vmcnt(24)                                        // 0000000041D8: BF8C4F78
	v_mfma_f32_16x16x32_fp8_fp8 v[144:147], a[32:33], v[200:201], v[144:147]// 0000000041DC: D3F30090 0E439120
	v_mfma_f32_16x16x32_fp8_fp8 v[144:147], a[34:35], v[202:203], v[144:147]// 0000000041E4: D3F30090 0E439522
	buffer_load_dwordx4 a[112:115], v36, s[92:95], 0 offen     // 0000000041EC: E05C1000 80977024
	v_mfma_f32_16x16x32_fp8_fp8 v[144:147], a[36:37], v[204:205], v[144:147]// 0000000041F4: D3F30090 0E439924
	v_mfma_f32_16x16x32_fp8_fp8 v[144:147], a[38:39], v[206:207], v[144:147]// 0000000041FC: D3F30090 0E439D26
	v_mfma_f32_16x16x32_fp8_fp8 v[144:147], a[40:41], v[208:209], v[144:147]// 000000004204: D3F30090 0E43A128
	v_mfma_f32_16x16x32_fp8_fp8 v[144:147], a[42:43], v[210:211], v[144:147]// 00000000420C: D3F30090 0E43A52A
	buffer_load_dwordx4 a[116:119], v36, s[92:95], 0 offen offset:1024// 000000004214: E05C1400 80977424
	v_mfma_f32_16x16x32_fp8_fp8 v[144:147], a[44:45], v[212:213], v[144:147]// 00000000421C: D3F30090 0E43A92C
	v_mfma_f32_16x16x32_fp8_fp8 v[144:147], a[46:47], v[214:215], v[144:147]// 000000004224: D3F30090 0E43AD2E
	v_mfma_f32_16x16x32_fp8_fp8 v[148:151], a[32:33], v[216:217], v[148:151]// 00000000422C: D3F30094 0E53B120
	v_mfma_f32_16x16x32_fp8_fp8 v[148:151], a[34:35], v[218:219], v[148:151]// 000000004234: D3F30094 0E53B522
	buffer_load_dwordx4 a[120:123], v36, s[92:95], 0 offen offset:2048// 00000000423C: E05C1800 80977824
	v_mfma_f32_16x16x32_fp8_fp8 v[148:151], a[36:37], v[220:221], v[148:151]// 000000004244: D3F30094 0E53B924
	v_mfma_f32_16x16x32_fp8_fp8 v[148:151], a[38:39], v[222:223], v[148:151]// 00000000424C: D3F30094 0E53BD26
	v_mfma_f32_16x16x32_fp8_fp8 v[148:151], a[40:41], v[224:225], v[148:151]// 000000004254: D3F30094 0E53C128
	v_mfma_f32_16x16x32_fp8_fp8 v[148:151], a[42:43], v[226:227], v[148:151]// 00000000425C: D3F30094 0E53C52A
	buffer_load_dwordx4 a[124:127], v36, s[92:95], 0 offen offset:3072// 000000004264: E05C1C00 80977C24
	v_mfma_f32_16x16x32_fp8_fp8 v[148:151], a[44:45], v[228:229], v[148:151]// 00000000426C: D3F30094 0E53C92C
	v_mfma_f32_16x16x32_fp8_fp8 v[148:151], a[46:47], v[230:231], v[148:151]// 000000004274: D3F30094 0E53CD2E
	s_waitcnt vmcnt(24)                                        // 00000000427C: BF8C4F78
	v_mfma_f32_16x16x32_fp8_fp8 v[152:155], a[48:49], v[200:201], v[152:155]// 000000004280: D3F30098 0E639130
	v_mfma_f32_16x16x32_fp8_fp8 v[152:155], a[50:51], v[202:203], v[152:155]// 000000004288: D3F30098 0E639532
	buffer_load_dwordx4 a[128:131], v37, s[92:95], 0 offen     // 000000004290: E05C1000 80978025
	v_mfma_f32_16x16x32_fp8_fp8 v[152:155], a[52:53], v[204:205], v[152:155]// 000000004298: D3F30098 0E639934
	v_mfma_f32_16x16x32_fp8_fp8 v[152:155], a[54:55], v[206:207], v[152:155]// 0000000042A0: D3F30098 0E639D36
	v_mfma_f32_16x16x32_fp8_fp8 v[152:155], a[56:57], v[208:209], v[152:155]// 0000000042A8: D3F30098 0E63A138
	v_mfma_f32_16x16x32_fp8_fp8 v[152:155], a[58:59], v[210:211], v[152:155]// 0000000042B0: D3F30098 0E63A53A
	buffer_load_dwordx4 a[132:135], v37, s[92:95], 0 offen offset:1024// 0000000042B8: E05C1400 80978425
	v_mfma_f32_16x16x32_fp8_fp8 v[152:155], a[60:61], v[212:213], v[152:155]// 0000000042C0: D3F30098 0E63A93C
	v_mfma_f32_16x16x32_fp8_fp8 v[152:155], a[62:63], v[214:215], v[152:155]// 0000000042C8: D3F30098 0E63AD3E
	v_mfma_f32_16x16x32_fp8_fp8 v[156:159], a[48:49], v[216:217], v[156:159]// 0000000042D0: D3F3009C 0E73B130
	v_mfma_f32_16x16x32_fp8_fp8 v[156:159], a[50:51], v[218:219], v[156:159]// 0000000042D8: D3F3009C 0E73B532
	buffer_load_dwordx4 a[136:139], v37, s[92:95], 0 offen offset:2048// 0000000042E0: E05C1800 80978825
	v_mfma_f32_16x16x32_fp8_fp8 v[156:159], a[52:53], v[220:221], v[156:159]// 0000000042E8: D3F3009C 0E73B934
	v_mfma_f32_16x16x32_fp8_fp8 v[156:159], a[54:55], v[222:223], v[156:159]// 0000000042F0: D3F3009C 0E73BD36
	v_mfma_f32_16x16x32_fp8_fp8 v[156:159], a[56:57], v[224:225], v[156:159]// 0000000042F8: D3F3009C 0E73C138
	v_mfma_f32_16x16x32_fp8_fp8 v[156:159], a[58:59], v[226:227], v[156:159]// 000000004300: D3F3009C 0E73C53A
	buffer_load_dwordx4 a[140:143], v37, s[92:95], 0 offen offset:3072// 000000004308: E05C1C00 80978C25
	v_mfma_f32_16x16x32_fp8_fp8 v[156:159], a[60:61], v[228:229], v[156:159]// 000000004310: D3F3009C 0E73C93C
	v_mfma_f32_16x16x32_fp8_fp8 v[156:159], a[62:63], v[230:231], v[156:159]// 000000004318: D3F3009C 0E73CD3E
	s_waitcnt vmcnt(24)                                        // 000000004320: BF8C4F78
	v_mfma_f32_16x16x32_fp8_fp8 v[160:163], a[64:65], v[200:201], v[160:163]// 000000004324: D3F300A0 0E839140
	v_mfma_f32_16x16x32_fp8_fp8 v[160:163], a[66:67], v[202:203], v[160:163]// 00000000432C: D3F300A0 0E839542
	buffer_load_dwordx4 a[144:147], v38, s[92:95], 0 offen     // 000000004334: E05C1000 80979026
	v_mfma_f32_16x16x32_fp8_fp8 v[160:163], a[68:69], v[204:205], v[160:163]// 00000000433C: D3F300A0 0E839944
	v_mfma_f32_16x16x32_fp8_fp8 v[160:163], a[70:71], v[206:207], v[160:163]// 000000004344: D3F300A0 0E839D46
	v_mfma_f32_16x16x32_fp8_fp8 v[160:163], a[72:73], v[208:209], v[160:163]// 00000000434C: D3F300A0 0E83A148
	v_mfma_f32_16x16x32_fp8_fp8 v[160:163], a[74:75], v[210:211], v[160:163]// 000000004354: D3F300A0 0E83A54A
	buffer_load_dwordx4 a[148:151], v38, s[92:95], 0 offen offset:1024// 00000000435C: E05C1400 80979426
	v_mfma_f32_16x16x32_fp8_fp8 v[160:163], a[76:77], v[212:213], v[160:163]// 000000004364: D3F300A0 0E83A94C
	v_mfma_f32_16x16x32_fp8_fp8 v[160:163], a[78:79], v[214:215], v[160:163]// 00000000436C: D3F300A0 0E83AD4E
	v_mfma_f32_16x16x32_fp8_fp8 v[164:167], a[64:65], v[216:217], v[164:167]// 000000004374: D3F300A4 0E93B140
	v_mfma_f32_16x16x32_fp8_fp8 v[164:167], a[66:67], v[218:219], v[164:167]// 00000000437C: D3F300A4 0E93B542
	buffer_load_dwordx4 a[152:155], v38, s[92:95], 0 offen offset:2048// 000000004384: E05C1800 80979826
	v_mfma_f32_16x16x32_fp8_fp8 v[164:167], a[68:69], v[220:221], v[164:167]// 00000000438C: D3F300A4 0E93B944
	v_mfma_f32_16x16x32_fp8_fp8 v[164:167], a[70:71], v[222:223], v[164:167]// 000000004394: D3F300A4 0E93BD46
	v_mfma_f32_16x16x32_fp8_fp8 v[164:167], a[72:73], v[224:225], v[164:167]// 00000000439C: D3F300A4 0E93C148
	v_mfma_f32_16x16x32_fp8_fp8 v[164:167], a[74:75], v[226:227], v[164:167]// 0000000043A4: D3F300A4 0E93C54A
	buffer_load_dwordx4 a[156:159], v38, s[92:95], 0 offen offset:3072// 0000000043AC: E05C1C00 80979C26
	v_mfma_f32_16x16x32_fp8_fp8 v[164:167], a[76:77], v[228:229], v[164:167]// 0000000043B4: D3F300A4 0E93C94C
	v_mfma_f32_16x16x32_fp8_fp8 v[164:167], a[78:79], v[230:231], v[164:167]// 0000000043BC: D3F300A4 0E93CD4E
	s_waitcnt vmcnt(12)                                        // 0000000043C4: BF8C0F7C
	s_barrier                                                  // 0000000043C8: BF8A0000
	v_mfma_f32_16x16x32_fp8_fp8 v[64:67], a[80:81], v[200:201], v[64:67]// 0000000043CC: D3F30040 0D039150
	v_mfma_f32_16x16x32_fp8_fp8 v[64:67], a[82:83], v[202:203], v[64:67]// 0000000043D4: D3F30040 0D039552
	buffer_load_dwordx4 a[0:3], v34, s[24:27], 0 offen         // 0000000043DC: E05C1000 80860022
	v_mfma_f32_16x16x32_fp8_fp8 v[64:67], a[84:85], v[204:205], v[64:67]// 0000000043E4: D3F30040 0D039954
	v_mfma_f32_16x16x32_fp8_fp8 v[64:67], a[86:87], v[206:207], v[64:67]// 0000000043EC: D3F30040 0D039D56
	v_mfma_f32_16x16x32_fp8_fp8 v[64:67], a[88:89], v[208:209], v[64:67]// 0000000043F4: D3F30040 0D03A158
	v_mfma_f32_16x16x32_fp8_fp8 v[64:67], a[90:91], v[210:211], v[64:67]// 0000000043FC: D3F30040 0D03A55A
	buffer_load_dwordx4 a[4:7], v34, s[24:27], 0 offen offset:1024// 000000004404: E05C1400 80860422
	v_mfma_f32_16x16x32_fp8_fp8 v[64:67], a[92:93], v[212:213], v[64:67]// 00000000440C: D3F30040 0D03A95C
	v_mfma_f32_16x16x32_fp8_fp8 v[64:67], a[94:95], v[214:215], v[64:67]// 000000004414: D3F30040 0D03AD5E
	v_mfma_f32_16x16x32_fp8_fp8 v[68:71], a[80:81], v[216:217], v[68:71]// 00000000441C: D3F30044 0D13B150
	v_mfma_f32_16x16x32_fp8_fp8 v[68:71], a[82:83], v[218:219], v[68:71]// 000000004424: D3F30044 0D13B552
	buffer_load_dwordx4 a[8:11], v34, s[24:27], 0 offen offset:2048// 00000000442C: E05C1800 80860822
	v_mfma_f32_16x16x32_fp8_fp8 v[68:71], a[84:85], v[220:221], v[68:71]// 000000004434: D3F30044 0D13B954
	v_mfma_f32_16x16x32_fp8_fp8 v[68:71], a[86:87], v[222:223], v[68:71]// 00000000443C: D3F30044 0D13BD56
	v_mfma_f32_16x16x32_fp8_fp8 v[68:71], a[88:89], v[224:225], v[68:71]// 000000004444: D3F30044 0D13C158
	v_mfma_f32_16x16x32_fp8_fp8 v[68:71], a[90:91], v[226:227], v[68:71]// 00000000444C: D3F30044 0D13C55A
	buffer_load_dwordx4 a[12:15], v34, s[24:27], 0 offen offset:3072// 000000004454: E05C1C00 80860C22
	v_mfma_f32_16x16x32_fp8_fp8 v[68:71], a[92:93], v[228:229], v[68:71]// 00000000445C: D3F30044 0D13C95C
	v_mfma_f32_16x16x32_fp8_fp8 v[68:71], a[94:95], v[230:231], v[68:71]// 000000004464: D3F30044 0D13CD5E
	v_mfma_f32_16x16x32_fp8_fp8 v[72:75], a[96:97], v[200:201], v[72:75]// 00000000446C: D3F30048 0D239160
	v_mfma_f32_16x16x32_fp8_fp8 v[72:75], a[98:99], v[202:203], v[72:75]// 000000004474: D3F30048 0D239562
	buffer_load_dwordx4 a[16:19], v35, s[24:27], 0 offen       // 00000000447C: E05C1000 80861023
	v_mfma_f32_16x16x32_fp8_fp8 v[72:75], a[100:101], v[204:205], v[72:75]// 000000004484: D3F30048 0D239964
	v_mfma_f32_16x16x32_fp8_fp8 v[72:75], a[102:103], v[206:207], v[72:75]// 00000000448C: D3F30048 0D239D66
	v_mfma_f32_16x16x32_fp8_fp8 v[72:75], a[104:105], v[208:209], v[72:75]// 000000004494: D3F30048 0D23A168
	v_mfma_f32_16x16x32_fp8_fp8 v[72:75], a[106:107], v[210:211], v[72:75]// 00000000449C: D3F30048 0D23A56A
	buffer_load_dwordx4 a[20:23], v35, s[24:27], 0 offen offset:1024// 0000000044A4: E05C1400 80861423
	v_mfma_f32_16x16x32_fp8_fp8 v[72:75], a[108:109], v[212:213], v[72:75]// 0000000044AC: D3F30048 0D23A96C
	v_mfma_f32_16x16x32_fp8_fp8 v[72:75], a[110:111], v[214:215], v[72:75]// 0000000044B4: D3F30048 0D23AD6E
	v_mfma_f32_16x16x32_fp8_fp8 v[76:79], a[96:97], v[216:217], v[76:79]// 0000000044BC: D3F3004C 0D33B160
	v_mfma_f32_16x16x32_fp8_fp8 v[76:79], a[98:99], v[218:219], v[76:79]// 0000000044C4: D3F3004C 0D33B562
	buffer_load_dwordx4 a[24:27], v35, s[24:27], 0 offen offset:2048// 0000000044CC: E05C1800 80861823
	v_mfma_f32_16x16x32_fp8_fp8 v[76:79], a[100:101], v[220:221], v[76:79]// 0000000044D4: D3F3004C 0D33B964
	v_mfma_f32_16x16x32_fp8_fp8 v[76:79], a[102:103], v[222:223], v[76:79]// 0000000044DC: D3F3004C 0D33BD66
	v_mfma_f32_16x16x32_fp8_fp8 v[76:79], a[104:105], v[224:225], v[76:79]// 0000000044E4: D3F3004C 0D33C168
	v_mfma_f32_16x16x32_fp8_fp8 v[76:79], a[106:107], v[226:227], v[76:79]// 0000000044EC: D3F3004C 0D33C56A
	buffer_load_dwordx4 a[28:31], v35, s[24:27], 0 offen offset:3072// 0000000044F4: E05C1C00 80861C23
	v_mfma_f32_16x16x32_fp8_fp8 v[76:79], a[108:109], v[228:229], v[76:79]// 0000000044FC: D3F3004C 0D33C96C
	v_mfma_f32_16x16x32_fp8_fp8 v[76:79], a[110:111], v[230:231], v[76:79]// 000000004504: D3F3004C 0D33CD6E
	s_waitcnt vmcnt(16)                                        // 00000000450C: BF8C4F70
	v_mfma_f32_16x16x32_fp8_fp8 v[80:83], a[112:113], v[200:201], v[80:83]// 000000004510: D3F30050 0D439170
	v_mfma_f32_16x16x32_fp8_fp8 v[80:83], a[114:115], v[202:203], v[80:83]// 000000004518: D3F30050 0D439572
	buffer_load_dwordx4 a[32:35], v36, s[24:27], 0 offen       // 000000004520: E05C1000 80862024
	v_mfma_f32_16x16x32_fp8_fp8 v[80:83], a[116:117], v[204:205], v[80:83]// 000000004528: D3F30050 0D439974
	v_mfma_f32_16x16x32_fp8_fp8 v[80:83], a[118:119], v[206:207], v[80:83]// 000000004530: D3F30050 0D439D76
	ds_read_b128 v[168:171], v2                                // 000000004538: D9FE0000 A8000002
	v_mfma_f32_16x16x32_fp8_fp8 v[80:83], a[120:121], v[208:209], v[80:83]// 000000004540: D3F30050 0D43A178
	v_mfma_f32_16x16x32_fp8_fp8 v[80:83], a[122:123], v[210:211], v[80:83]// 000000004548: D3F30050 0D43A57A
	buffer_load_dwordx4 a[36:39], v36, s[24:27], 0 offen offset:1024// 000000004550: E05C1400 80862424
	v_mfma_f32_16x16x32_fp8_fp8 v[80:83], a[124:125], v[212:213], v[80:83]// 000000004558: D3F30050 0D43A97C
	v_mfma_f32_16x16x32_fp8_fp8 v[80:83], a[126:127], v[214:215], v[80:83]// 000000004560: D3F30050 0D43AD7E
	ds_read_b128 v[172:175], v2 offset:64                      // 000000004568: D9FE0040 AC000002
	v_mfma_f32_16x16x32_fp8_fp8 v[84:87], a[112:113], v[216:217], v[84:87]// 000000004570: D3F30054 0D53B170
	v_mfma_f32_16x16x32_fp8_fp8 v[84:87], a[114:115], v[218:219], v[84:87]// 000000004578: D3F30054 0D53B572
	buffer_load_dwordx4 a[40:43], v36, s[24:27], 0 offen offset:2048// 000000004580: E05C1800 80862824
	v_mfma_f32_16x16x32_fp8_fp8 v[84:87], a[116:117], v[220:221], v[84:87]// 000000004588: D3F30054 0D53B974
	v_mfma_f32_16x16x32_fp8_fp8 v[84:87], a[118:119], v[222:223], v[84:87]// 000000004590: D3F30054 0D53BD76
	ds_read_b128 v[176:179], v2 offset:128                     // 000000004598: D9FE0080 B0000002
	v_mfma_f32_16x16x32_fp8_fp8 v[84:87], a[120:121], v[224:225], v[84:87]// 0000000045A0: D3F30054 0D53C178
	v_mfma_f32_16x16x32_fp8_fp8 v[84:87], a[122:123], v[226:227], v[84:87]// 0000000045A8: D3F30054 0D53C57A
	buffer_load_dwordx4 a[44:47], v36, s[24:27], 0 offen offset:3072// 0000000045B0: E05C1C00 80862C24
	v_mfma_f32_16x16x32_fp8_fp8 v[84:87], a[124:125], v[228:229], v[84:87]// 0000000045B8: D3F30054 0D53C97C
	v_mfma_f32_16x16x32_fp8_fp8 v[84:87], a[126:127], v[230:231], v[84:87]// 0000000045C0: D3F30054 0D53CD7E
	ds_read_b128 v[180:183], v2 offset:192                     // 0000000045C8: D9FE00C0 B4000002
	s_waitcnt vmcnt(16)                                        // 0000000045D0: BF8C4F70
	v_mfma_f32_16x16x32_fp8_fp8 v[88:91], a[128:129], v[200:201], v[88:91]// 0000000045D4: D3F30058 0D639180
	v_mfma_f32_16x16x32_fp8_fp8 v[88:91], a[130:131], v[202:203], v[88:91]// 0000000045DC: D3F30058 0D639582
	buffer_load_dwordx4 a[48:51], v37, s[24:27], 0 offen       // 0000000045E4: E05C1000 80863025
	v_mfma_f32_16x16x32_fp8_fp8 v[88:91], a[132:133], v[204:205], v[88:91]// 0000000045EC: D3F30058 0D639984
	v_mfma_f32_16x16x32_fp8_fp8 v[88:91], a[134:135], v[206:207], v[88:91]// 0000000045F4: D3F30058 0D639D86
	ds_read_b128 v[184:187], v2 offset:1024                    // 0000000045FC: D9FE0400 B8000002
	v_mfma_f32_16x16x32_fp8_fp8 v[88:91], a[136:137], v[208:209], v[88:91]// 000000004604: D3F30058 0D63A188
	v_mfma_f32_16x16x32_fp8_fp8 v[88:91], a[138:139], v[210:211], v[88:91]// 00000000460C: D3F30058 0D63A58A
	buffer_load_dwordx4 a[52:55], v37, s[24:27], 0 offen offset:1024// 000000004614: E05C1400 80863425
	v_mfma_f32_16x16x32_fp8_fp8 v[88:91], a[140:141], v[212:213], v[88:91]// 00000000461C: D3F30058 0D63A98C
	v_mfma_f32_16x16x32_fp8_fp8 v[88:91], a[142:143], v[214:215], v[88:91]// 000000004624: D3F30058 0D63AD8E
	ds_read_b128 v[188:191], v2 offset:1088                    // 00000000462C: D9FE0440 BC000002
	v_mfma_f32_16x16x32_fp8_fp8 v[92:95], a[128:129], v[216:217], v[92:95]// 000000004634: D3F3005C 0D73B180
	v_mfma_f32_16x16x32_fp8_fp8 v[92:95], a[130:131], v[218:219], v[92:95]// 00000000463C: D3F3005C 0D73B582
	buffer_load_dwordx4 a[56:59], v37, s[24:27], 0 offen offset:2048// 000000004644: E05C1800 80863825
	v_mfma_f32_16x16x32_fp8_fp8 v[92:95], a[132:133], v[220:221], v[92:95]// 00000000464C: D3F3005C 0D73B984
	v_mfma_f32_16x16x32_fp8_fp8 v[92:95], a[134:135], v[222:223], v[92:95]// 000000004654: D3F3005C 0D73BD86
	ds_read_b128 v[192:195], v2 offset:1152                    // 00000000465C: D9FE0480 C0000002
	v_mfma_f32_16x16x32_fp8_fp8 v[92:95], a[136:137], v[224:225], v[92:95]// 000000004664: D3F3005C 0D73C188
	v_mfma_f32_16x16x32_fp8_fp8 v[92:95], a[138:139], v[226:227], v[92:95]// 00000000466C: D3F3005C 0D73C58A
	buffer_load_dwordx4 a[60:63], v37, s[24:27], 0 offen offset:3072// 000000004674: E05C1C00 80863C25
	v_mfma_f32_16x16x32_fp8_fp8 v[92:95], a[140:141], v[228:229], v[92:95]// 00000000467C: D3F3005C 0D73C98C
	v_mfma_f32_16x16x32_fp8_fp8 v[92:95], a[142:143], v[230:231], v[92:95]// 000000004684: D3F3005C 0D73CD8E
	ds_read_b128 v[196:199], v2 offset:1216                    // 00000000468C: D9FE04C0 C4000002
	s_waitcnt vmcnt(16)                                        // 000000004694: BF8C4F70
	v_mfma_f32_16x16x32_fp8_fp8 v[96:99], a[144:145], v[200:201], v[96:99]// 000000004698: D3F30060 0D839190
	v_mfma_f32_16x16x32_fp8_fp8 v[96:99], a[146:147], v[202:203], v[96:99]// 0000000046A0: D3F30060 0D839592
	buffer_load_dwordx4 a[64:67], v38, s[24:27], 0 offen       // 0000000046A8: E05C1000 80864026
	v_mfma_f32_16x16x32_fp8_fp8 v[96:99], a[148:149], v[204:205], v[96:99]// 0000000046B0: D3F30060 0D839994
	v_mfma_f32_16x16x32_fp8_fp8 v[96:99], a[150:151], v[206:207], v[96:99]// 0000000046B8: D3F30060 0D839D96
	v_mfma_f32_16x16x32_fp8_fp8 v[96:99], a[152:153], v[208:209], v[96:99]// 0000000046C0: D3F30060 0D83A198
	v_mfma_f32_16x16x32_fp8_fp8 v[96:99], a[154:155], v[210:211], v[96:99]// 0000000046C8: D3F30060 0D83A59A
	buffer_load_dwordx4 a[68:71], v38, s[24:27], 0 offen offset:1024// 0000000046D0: E05C1400 80864426
	v_mfma_f32_16x16x32_fp8_fp8 v[96:99], a[156:157], v[212:213], v[96:99]// 0000000046D8: D3F30060 0D83A99C
	v_mfma_f32_16x16x32_fp8_fp8 v[96:99], a[158:159], v[214:215], v[96:99]// 0000000046E0: D3F30060 0D83AD9E
	v_mfma_f32_16x16x32_fp8_fp8 v[100:103], a[144:145], v[216:217], v[100:103]// 0000000046E8: D3F30064 0D93B190
	v_mfma_f32_16x16x32_fp8_fp8 v[100:103], a[146:147], v[218:219], v[100:103]// 0000000046F0: D3F30064 0D93B592
	buffer_load_dwordx4 a[72:75], v38, s[24:27], 0 offen offset:2048// 0000000046F8: E05C1800 80864826
	v_mfma_f32_16x16x32_fp8_fp8 v[100:103], a[148:149], v[220:221], v[100:103]// 000000004700: D3F30064 0D93B994
	v_mfma_f32_16x16x32_fp8_fp8 v[100:103], a[150:151], v[222:223], v[100:103]// 000000004708: D3F30064 0D93BD96
	v_mfma_f32_16x16x32_fp8_fp8 v[100:103], a[152:153], v[224:225], v[100:103]// 000000004710: D3F30064 0D93C198
	v_mfma_f32_16x16x32_fp8_fp8 v[100:103], a[154:155], v[226:227], v[100:103]// 000000004718: D3F30064 0D93C59A
	buffer_load_dwordx4 a[76:79], v38, s[24:27], 0 offen offset:3072// 000000004720: E05C1C00 80864C26
	v_mfma_f32_16x16x32_fp8_fp8 v[100:103], a[156:157], v[228:229], v[100:103]// 000000004728: D3F30064 0D93C99C
	v_mfma_f32_16x16x32_fp8_fp8 v[100:103], a[158:159], v[230:231], v[100:103]// 000000004730: D3F30064 0D93CD9E
	s_add_u32 s60, 0x200, s80                                  // 000000004738: 803C50FF 00000200
	s_cmp_lt_u32 s60, s81                                      // 000000004740: BF0A513C
	s_cselect_b32 s57, s57, 0                                  // 000000004744: 85398039
	s_add_u32 s60, 0x200, s80                                  // 000000004748: 803C50FF 00000200
	s_cmp_lt_u32 s60, s81                                      // 000000004750: BF0A513C
	s_cselect_b32 s58, s58, 0                                  // 000000004754: 853A803A
	s_add_u32 s20, s57, s20                                    // 000000004758: 80141439
	s_addc_u32 s21, 0, s21                                     // 00000000475C: 82151580
	s_add_u32 s24, s58, s24                                    // 000000004760: 8018183A
	s_addc_u32 s25, 0, s25                                     // 000000004764: 82191980
	s_add_u32 s92, s90, s92                                    // 000000004768: 805C5C5A
	s_addc_u32 s93, 0, s93                                     // 00000000476C: 825D5D80
	s_addk_i32 s80, 0x100                                      // 000000004770: B7500100
	s_cmp_lt_i32 s80, s81                                      // 000000004774: BF045150
	s_cbranch_scc0 label_0660                                  // 000000004778: BF840001
	s_branch label_02AB                                        // 00000000477C: BF82FC4B

0000000000004780 <label_0660>:
	s_mov_b32 s36, -1                                          // 000000004780: BEA400C1
	s_mov_b32 s37, -1                                          // 000000004784: BEA500C1
	s_mov_b64 s[60:61], 0                                      // 000000004788: BEBC0180
	s_cmp_lt_u32 s82, s66                                      // 00000000478C: BF0A4252
	s_cselect_b64 s[20:21], s[36:37], s[60:61]                 // 000000004790: 85943C24
	s_cmp_lt_u32 s83, s66                                      // 000000004794: BF0A4253
	s_cselect_b64 s[22:23], s[36:37], s[60:61]                 // 000000004798: 85963C24
	s_cmp_lt_u32 s84, s66                                      // 00000000479C: BF0A4254
	s_cselect_b64 s[24:25], s[36:37], s[60:61]                 // 0000000047A0: 85983C24
	s_cmp_lt_u32 s85, s66                                      // 0000000047A4: BF0A4255
	s_cselect_b64 s[26:27], s[36:37], s[60:61]                 // 0000000047A8: 859A3C24
	s_cmp_lt_u32 s86, s66                                      // 0000000047AC: BF0A4256
	s_cselect_b64 s[28:29], s[36:37], s[60:61]                 // 0000000047B0: 859C3C24
	s_cmp_lt_u32 s87, s66                                      // 0000000047B4: BF0A4257
	s_cselect_b64 s[30:31], s[36:37], s[60:61]                 // 0000000047B8: 859E3C24
	s_cmp_lt_u32 s88, s66                                      // 0000000047BC: BF0A4258
	s_cselect_b64 s[32:33], s[36:37], s[60:61]                 // 0000000047C0: 85A03C24
	s_cmp_lt_u32 s89, s66                                      // 0000000047C4: BF0A4259
	s_cselect_b64 s[34:35], s[36:37], s[60:61]                 // 0000000047C8: 85A23C24
	v_mul_f32_e32 v128, v14, v128                              // 0000000047CC: 0B01010E
	v_mul_f32_e32 v129, v14, v129                              // 0000000047D0: 0B03030E
	v_mul_f32_e32 v130, v14, v130                              // 0000000047D4: 0B05050E
	v_mul_f32_e32 v131, v14, v131                              // 0000000047D8: 0B07070E
	v_mul_f32_dpp v128, v16, v128 row_newbcast:0 row_mask:0xf bank_mask:0xf// 0000000047DC: 0B0100FA FF015010
	v_mul_f32_dpp v129, v16, v129 row_newbcast:1 row_mask:0xf bank_mask:0xf// 0000000047E4: 0B0302FA FF015110
	v_mul_f32_dpp v130, v16, v130 row_newbcast:2 row_mask:0xf bank_mask:0xf// 0000000047EC: 0B0504FA FF015210
	v_mul_f32_dpp v131, v16, v131 row_newbcast:3 row_mask:0xf bank_mask:0xf// 0000000047F4: 0B0706FA FF015310
	v_mul_f32_e32 v132, v15, v132                              // 0000000047FC: 0B09090F
	v_mul_f32_e32 v133, v15, v133                              // 000000004800: 0B0B0B0F
	v_mul_f32_e32 v134, v15, v134                              // 000000004804: 0B0D0D0F
	v_mul_f32_e32 v135, v15, v135                              // 000000004808: 0B0F0F0F
	v_mul_f32_dpp v132, v16, v132 row_newbcast:0 row_mask:0xf bank_mask:0xf// 00000000480C: 0B0908FA FF015010
	v_mul_f32_dpp v133, v16, v133 row_newbcast:1 row_mask:0xf bank_mask:0xf// 000000004814: 0B0B0AFA FF015110
	v_mul_f32_dpp v134, v16, v134 row_newbcast:2 row_mask:0xf bank_mask:0xf// 00000000481C: 0B0D0CFA FF015210
	v_mul_f32_dpp v135, v16, v135 row_newbcast:3 row_mask:0xf bank_mask:0xf// 000000004824: 0B0F0EFA FF015310
	v_mul_f32_e32 v136, v14, v136                              // 00000000482C: 0B11110E
	v_mul_f32_e32 v137, v14, v137                              // 000000004830: 0B13130E
	v_mul_f32_e32 v138, v14, v138                              // 000000004834: 0B15150E
	v_mul_f32_e32 v139, v14, v139                              // 000000004838: 0B17170E
	v_mul_f32_dpp v136, v16, v136 row_newbcast:4 row_mask:0xf bank_mask:0xf// 00000000483C: 0B1110FA FF015410
	v_mul_f32_dpp v137, v16, v137 row_newbcast:5 row_mask:0xf bank_mask:0xf// 000000004844: 0B1312FA FF015510
	v_mul_f32_dpp v138, v16, v138 row_newbcast:6 row_mask:0xf bank_mask:0xf// 00000000484C: 0B1514FA FF015610
	v_mul_f32_dpp v139, v16, v139 row_newbcast:7 row_mask:0xf bank_mask:0xf// 000000004854: 0B1716FA FF015710
	v_mul_f32_e32 v140, v15, v140                              // 00000000485C: 0B19190F
	v_mul_f32_e32 v141, v15, v141                              // 000000004860: 0B1B1B0F
	v_mul_f32_e32 v142, v15, v142                              // 000000004864: 0B1D1D0F
	v_mul_f32_e32 v143, v15, v143                              // 000000004868: 0B1F1F0F
	v_mul_f32_dpp v140, v16, v140 row_newbcast:4 row_mask:0xf bank_mask:0xf// 00000000486C: 0B1918FA FF015410
	v_mul_f32_dpp v141, v16, v141 row_newbcast:5 row_mask:0xf bank_mask:0xf// 000000004874: 0B1B1AFA FF015510
	v_mul_f32_dpp v142, v16, v142 row_newbcast:6 row_mask:0xf bank_mask:0xf// 00000000487C: 0B1D1CFA FF015610
	v_mul_f32_dpp v143, v16, v143 row_newbcast:7 row_mask:0xf bank_mask:0xf// 000000004884: 0B1F1EFA FF015710
	v_mul_f32_e32 v144, v14, v144                              // 00000000488C: 0B21210E
	v_mul_f32_e32 v145, v14, v145                              // 000000004890: 0B23230E
	v_mul_f32_e32 v146, v14, v146                              // 000000004894: 0B25250E
	v_mul_f32_e32 v147, v14, v147                              // 000000004898: 0B27270E
	v_mul_f32_dpp v144, v16, v144 row_newbcast:8 row_mask:0xf bank_mask:0xf// 00000000489C: 0B2120FA FF015810
	v_mul_f32_dpp v145, v16, v145 row_newbcast:9 row_mask:0xf bank_mask:0xf// 0000000048A4: 0B2322FA FF015910
	v_mul_f32_dpp v146, v16, v146 row_newbcast:10 row_mask:0xf bank_mask:0xf// 0000000048AC: 0B2524FA FF015A10
	v_mul_f32_dpp v147, v16, v147 row_newbcast:11 row_mask:0xf bank_mask:0xf// 0000000048B4: 0B2726FA FF015B10
	v_mul_f32_e32 v148, v15, v148                              // 0000000048BC: 0B29290F
	v_mul_f32_e32 v149, v15, v149                              // 0000000048C0: 0B2B2B0F
	v_mul_f32_e32 v150, v15, v150                              // 0000000048C4: 0B2D2D0F
	v_mul_f32_e32 v151, v15, v151                              // 0000000048C8: 0B2F2F0F
	v_mul_f32_dpp v148, v16, v148 row_newbcast:8 row_mask:0xf bank_mask:0xf// 0000000048CC: 0B2928FA FF015810
	v_mul_f32_dpp v149, v16, v149 row_newbcast:9 row_mask:0xf bank_mask:0xf// 0000000048D4: 0B2B2AFA FF015910
	v_mul_f32_dpp v150, v16, v150 row_newbcast:10 row_mask:0xf bank_mask:0xf// 0000000048DC: 0B2D2CFA FF015A10
	v_mul_f32_dpp v151, v16, v151 row_newbcast:11 row_mask:0xf bank_mask:0xf// 0000000048E4: 0B2F2EFA FF015B10
	v_mul_f32_e32 v152, v14, v152                              // 0000000048EC: 0B31310E
	v_mul_f32_e32 v153, v14, v153                              // 0000000048F0: 0B33330E
	v_mul_f32_e32 v154, v14, v154                              // 0000000048F4: 0B35350E
	v_mul_f32_e32 v155, v14, v155                              // 0000000048F8: 0B37370E
	v_mul_f32_dpp v152, v16, v152 row_newbcast:12 row_mask:0xf bank_mask:0xf// 0000000048FC: 0B3130FA FF015C10
	v_mul_f32_dpp v153, v16, v153 row_newbcast:13 row_mask:0xf bank_mask:0xf// 000000004904: 0B3332FA FF015D10
	v_mul_f32_dpp v154, v16, v154 row_newbcast:14 row_mask:0xf bank_mask:0xf// 00000000490C: 0B3534FA FF015E10
	v_mul_f32_dpp v155, v16, v155 row_newbcast:15 row_mask:0xf bank_mask:0xf// 000000004914: 0B3736FA FF015F10
	v_mul_f32_e32 v156, v15, v156                              // 00000000491C: 0B39390F
	v_mul_f32_e32 v157, v15, v157                              // 000000004920: 0B3B3B0F
	v_mul_f32_e32 v158, v15, v158                              // 000000004924: 0B3D3D0F
	v_mul_f32_e32 v159, v15, v159                              // 000000004928: 0B3F3F0F
	v_mul_f32_dpp v156, v16, v156 row_newbcast:12 row_mask:0xf bank_mask:0xf// 00000000492C: 0B3938FA FF015C10
	v_mul_f32_dpp v157, v16, v157 row_newbcast:13 row_mask:0xf bank_mask:0xf// 000000004934: 0B3B3AFA FF015D10
	v_mul_f32_dpp v158, v16, v158 row_newbcast:14 row_mask:0xf bank_mask:0xf// 00000000493C: 0B3D3CFA FF015E10
	v_mul_f32_dpp v159, v16, v159 row_newbcast:15 row_mask:0xf bank_mask:0xf// 000000004944: 0B3F3EFA FF015F10
	v_mul_f32_e32 v160, v14, v160                              // 00000000494C: 0B41410E
	v_mul_f32_e32 v161, v14, v161                              // 000000004950: 0B43430E
	v_mul_f32_e32 v162, v14, v162                              // 000000004954: 0B45450E
	v_mul_f32_e32 v163, v14, v163                              // 000000004958: 0B47470E
	v_mul_f32_dpp v160, v17, v160 row_newbcast:0 row_mask:0xf bank_mask:0xf// 00000000495C: 0B4140FA FF015011
	v_mul_f32_dpp v161, v17, v161 row_newbcast:1 row_mask:0xf bank_mask:0xf// 000000004964: 0B4342FA FF015111
	v_mul_f32_dpp v162, v17, v162 row_newbcast:2 row_mask:0xf bank_mask:0xf// 00000000496C: 0B4544FA FF015211
	v_mul_f32_dpp v163, v17, v163 row_newbcast:3 row_mask:0xf bank_mask:0xf// 000000004974: 0B4746FA FF015311
	v_mul_f32_e32 v164, v15, v164                              // 00000000497C: 0B49490F
	v_mul_f32_e32 v165, v15, v165                              // 000000004980: 0B4B4B0F
	v_mul_f32_e32 v166, v15, v166                              // 000000004984: 0B4D4D0F
	v_mul_f32_e32 v167, v15, v167                              // 000000004988: 0B4F4F0F
	v_mul_f32_dpp v164, v17, v164 row_newbcast:0 row_mask:0xf bank_mask:0xf// 00000000498C: 0B4948FA FF015011
	v_mul_f32_dpp v165, v17, v165 row_newbcast:1 row_mask:0xf bank_mask:0xf// 000000004994: 0B4B4AFA FF015111
	v_mul_f32_dpp v166, v17, v166 row_newbcast:2 row_mask:0xf bank_mask:0xf// 00000000499C: 0B4D4CFA FF015211
	v_mul_f32_dpp v167, v17, v167 row_newbcast:3 row_mask:0xf bank_mask:0xf// 0000000049A4: 0B4F4EFA FF015311
	v_mul_f32_e32 v64, v14, v64                                // 0000000049AC: 0A80810E
	v_mul_f32_e32 v65, v14, v65                                // 0000000049B0: 0A82830E
	v_mul_f32_e32 v66, v14, v66                                // 0000000049B4: 0A84850E
	v_mul_f32_e32 v67, v14, v67                                // 0000000049B8: 0A86870E
	v_mul_f32_dpp v64, v47, v64 row_newbcast:0 row_mask:0xf bank_mask:0xf// 0000000049BC: 0A8080FA FF01502F
	v_mul_f32_dpp v65, v47, v65 row_newbcast:1 row_mask:0xf bank_mask:0xf// 0000000049C4: 0A8282FA FF01512F
	v_mul_f32_dpp v66, v47, v66 row_newbcast:2 row_mask:0xf bank_mask:0xf// 0000000049CC: 0A8484FA FF01522F
	v_mul_f32_dpp v67, v47, v67 row_newbcast:3 row_mask:0xf bank_mask:0xf// 0000000049D4: 0A8686FA FF01532F
	v_mul_f32_e32 v68, v15, v68                                // 0000000049DC: 0A88890F
	v_mul_f32_e32 v69, v15, v69                                // 0000000049E0: 0A8A8B0F
	v_mul_f32_e32 v70, v15, v70                                // 0000000049E4: 0A8C8D0F
	v_mul_f32_e32 v71, v15, v71                                // 0000000049E8: 0A8E8F0F
	v_mul_f32_dpp v68, v47, v68 row_newbcast:0 row_mask:0xf bank_mask:0xf// 0000000049EC: 0A8888FA FF01502F
	v_mul_f32_dpp v69, v47, v69 row_newbcast:1 row_mask:0xf bank_mask:0xf// 0000000049F4: 0A8A8AFA FF01512F
	v_mul_f32_dpp v70, v47, v70 row_newbcast:2 row_mask:0xf bank_mask:0xf// 0000000049FC: 0A8C8CFA FF01522F
	v_mul_f32_dpp v71, v47, v71 row_newbcast:3 row_mask:0xf bank_mask:0xf// 000000004A04: 0A8E8EFA FF01532F
	v_mul_f32_e32 v72, v14, v72                                // 000000004A0C: 0A90910E
	v_mul_f32_e32 v73, v14, v73                                // 000000004A10: 0A92930E
	v_mul_f32_e32 v74, v14, v74                                // 000000004A14: 0A94950E
	v_mul_f32_e32 v75, v14, v75                                // 000000004A18: 0A96970E
	v_mul_f32_dpp v72, v47, v72 row_newbcast:4 row_mask:0xf bank_mask:0xf// 000000004A1C: 0A9090FA FF01542F
	v_mul_f32_dpp v73, v47, v73 row_newbcast:5 row_mask:0xf bank_mask:0xf// 000000004A24: 0A9292FA FF01552F
	v_mul_f32_dpp v74, v47, v74 row_newbcast:6 row_mask:0xf bank_mask:0xf// 000000004A2C: 0A9494FA FF01562F
	v_mul_f32_dpp v75, v47, v75 row_newbcast:7 row_mask:0xf bank_mask:0xf// 000000004A34: 0A9696FA FF01572F
	v_mul_f32_e32 v76, v15, v76                                // 000000004A3C: 0A98990F
	v_mul_f32_e32 v77, v15, v77                                // 000000004A40: 0A9A9B0F
	v_mul_f32_e32 v78, v15, v78                                // 000000004A44: 0A9C9D0F
	v_mul_f32_e32 v79, v15, v79                                // 000000004A48: 0A9E9F0F
	v_mul_f32_dpp v76, v47, v76 row_newbcast:4 row_mask:0xf bank_mask:0xf// 000000004A4C: 0A9898FA FF01542F
	v_mul_f32_dpp v77, v47, v77 row_newbcast:5 row_mask:0xf bank_mask:0xf// 000000004A54: 0A9A9AFA FF01552F
	v_mul_f32_dpp v78, v47, v78 row_newbcast:6 row_mask:0xf bank_mask:0xf// 000000004A5C: 0A9C9CFA FF01562F
	v_mul_f32_dpp v79, v47, v79 row_newbcast:7 row_mask:0xf bank_mask:0xf// 000000004A64: 0A9E9EFA FF01572F
	v_mul_f32_e32 v80, v14, v80                                // 000000004A6C: 0AA0A10E
	v_mul_f32_e32 v81, v14, v81                                // 000000004A70: 0AA2A30E
	v_mul_f32_e32 v82, v14, v82                                // 000000004A74: 0AA4A50E
	v_mul_f32_e32 v83, v14, v83                                // 000000004A78: 0AA6A70E
	v_mul_f32_dpp v80, v47, v80 row_newbcast:8 row_mask:0xf bank_mask:0xf// 000000004A7C: 0AA0A0FA FF01582F
	v_mul_f32_dpp v81, v47, v81 row_newbcast:9 row_mask:0xf bank_mask:0xf// 000000004A84: 0AA2A2FA FF01592F
	v_mul_f32_dpp v82, v47, v82 row_newbcast:10 row_mask:0xf bank_mask:0xf// 000000004A8C: 0AA4A4FA FF015A2F
	v_mul_f32_dpp v83, v47, v83 row_newbcast:11 row_mask:0xf bank_mask:0xf// 000000004A94: 0AA6A6FA FF015B2F
	v_mul_f32_e32 v84, v15, v84                                // 000000004A9C: 0AA8A90F
	v_mul_f32_e32 v85, v15, v85                                // 000000004AA0: 0AAAAB0F
	v_mul_f32_e32 v86, v15, v86                                // 000000004AA4: 0AACAD0F
	v_mul_f32_e32 v87, v15, v87                                // 000000004AA8: 0AAEAF0F
	v_mul_f32_dpp v84, v47, v84 row_newbcast:8 row_mask:0xf bank_mask:0xf// 000000004AAC: 0AA8A8FA FF01582F
	v_mul_f32_dpp v85, v47, v85 row_newbcast:9 row_mask:0xf bank_mask:0xf// 000000004AB4: 0AAAAAFA FF01592F
	v_mul_f32_dpp v86, v47, v86 row_newbcast:10 row_mask:0xf bank_mask:0xf// 000000004ABC: 0AACACFA FF015A2F
	v_mul_f32_dpp v87, v47, v87 row_newbcast:11 row_mask:0xf bank_mask:0xf// 000000004AC4: 0AAEAEFA FF015B2F
	v_mul_f32_e32 v88, v14, v88                                // 000000004ACC: 0AB0B10E
	v_mul_f32_e32 v89, v14, v89                                // 000000004AD0: 0AB2B30E
	v_mul_f32_e32 v90, v14, v90                                // 000000004AD4: 0AB4B50E
	v_mul_f32_e32 v91, v14, v91                                // 000000004AD8: 0AB6B70E
	v_mul_f32_dpp v88, v47, v88 row_newbcast:12 row_mask:0xf bank_mask:0xf// 000000004ADC: 0AB0B0FA FF015C2F
	v_mul_f32_dpp v89, v47, v89 row_newbcast:13 row_mask:0xf bank_mask:0xf// 000000004AE4: 0AB2B2FA FF015D2F
	v_mul_f32_dpp v90, v47, v90 row_newbcast:14 row_mask:0xf bank_mask:0xf// 000000004AEC: 0AB4B4FA FF015E2F
	v_mul_f32_dpp v91, v47, v91 row_newbcast:15 row_mask:0xf bank_mask:0xf// 000000004AF4: 0AB6B6FA FF015F2F
	v_mul_f32_e32 v92, v15, v92                                // 000000004AFC: 0AB8B90F
	v_mul_f32_e32 v93, v15, v93                                // 000000004B00: 0ABABB0F
	v_mul_f32_e32 v94, v15, v94                                // 000000004B04: 0ABCBD0F
	v_mul_f32_e32 v95, v15, v95                                // 000000004B08: 0ABEBF0F
	v_mul_f32_dpp v92, v47, v92 row_newbcast:12 row_mask:0xf bank_mask:0xf// 000000004B0C: 0AB8B8FA FF015C2F
	v_mul_f32_dpp v93, v47, v93 row_newbcast:13 row_mask:0xf bank_mask:0xf// 000000004B14: 0ABABAFA FF015D2F
	v_mul_f32_dpp v94, v47, v94 row_newbcast:14 row_mask:0xf bank_mask:0xf// 000000004B1C: 0ABCBCFA FF015E2F
	v_mul_f32_dpp v95, v47, v95 row_newbcast:15 row_mask:0xf bank_mask:0xf// 000000004B24: 0ABEBEFA FF015F2F
	v_mul_f32_e32 v96, v14, v96                                // 000000004B2C: 0AC0C10E
	v_mul_f32_e32 v97, v14, v97                                // 000000004B30: 0AC2C30E
	v_mul_f32_e32 v98, v14, v98                                // 000000004B34: 0AC4C50E
	v_mul_f32_e32 v99, v14, v99                                // 000000004B38: 0AC6C70E
	v_mul_f32_dpp v96, v48, v96 row_newbcast:0 row_mask:0xf bank_mask:0xf// 000000004B3C: 0AC0C0FA FF015030
	v_mul_f32_dpp v97, v48, v97 row_newbcast:1 row_mask:0xf bank_mask:0xf// 000000004B44: 0AC2C2FA FF015130
	v_mul_f32_dpp v98, v48, v98 row_newbcast:2 row_mask:0xf bank_mask:0xf// 000000004B4C: 0AC4C4FA FF015230
	v_mul_f32_dpp v99, v48, v99 row_newbcast:3 row_mask:0xf bank_mask:0xf// 000000004B54: 0AC6C6FA FF015330
	v_mul_f32_e32 v100, v15, v100                              // 000000004B5C: 0AC8C90F
	v_mul_f32_e32 v101, v15, v101                              // 000000004B60: 0ACACB0F
	v_mul_f32_e32 v102, v15, v102                              // 000000004B64: 0ACCCD0F
	v_mul_f32_e32 v103, v15, v103                              // 000000004B68: 0ACECF0F
	v_mul_f32_dpp v100, v48, v100 row_newbcast:0 row_mask:0xf bank_mask:0xf// 000000004B6C: 0AC8C8FA FF015030
	v_mul_f32_dpp v101, v48, v101 row_newbcast:1 row_mask:0xf bank_mask:0xf// 000000004B74: 0ACACAFA FF015130
	v_mul_f32_dpp v102, v48, v102 row_newbcast:2 row_mask:0xf bank_mask:0xf// 000000004B7C: 0ACCCCFA FF015230
	v_mul_f32_dpp v103, v48, v103 row_newbcast:3 row_mask:0xf bank_mask:0xf// 000000004B84: 0ACECEFA FF015330
	s_waitcnt vmcnt(16)                                        // 000000004B8C: BF8C4F70
	buffer_load_dwordx4 a[0:3], v39, s[12:15], 0 offen         // 000000004B90: E05C1000 80830027
	v_mul_f32_e32 v50, v128, v128                              // 000000004B98: 0A650180
	v_mul_f32_e32 v51, v129, v129                              // 000000004B9C: 0A670381
	v_mul_f32_e32 v52, v130, v130                              // 000000004BA0: 0A690582
	v_mul_f32_e32 v53, v131, v131                              // 000000004BA4: 0A6B0783
	v_fma_f32 v50, v50, s77, v1                                // 000000004BA8: D1CB0032 04049B32
	v_fma_f32 v51, v51, s77, v1                                // 000000004BB0: D1CB0033 04049B33
	v_fma_f32 v52, v52, s77, v1                                // 000000004BB8: D1CB0034 04049B34
	v_fma_f32 v53, v53, s77, v1                                // 000000004BC0: D1CB0035 04049B35
	v_mul_f32_e32 v50, v50, v128                               // 000000004BC8: 0A650132
	v_mul_f32_e32 v51, v51, v129                               // 000000004BCC: 0A670333
	v_mul_f32_e32 v52, v52, v130                               // 000000004BD0: 0A690534
	v_mul_f32_e32 v53, v53, v131                               // 000000004BD4: 0A6B0735
	v_mul_f32_e64 v50, v50, s6                                 // 000000004BD8: D1050032 00000D32
	v_mul_f32_e64 v51, v51, s6                                 // 000000004BE0: D1050033 00000D33
	v_mul_f32_e64 v52, v52, s6                                 // 000000004BE8: D1050034 00000D34
	v_mul_f32_e64 v53, v53, s6                                 // 000000004BF0: D1050035 00000D35
	v_exp_f32_e32 v50, v50                                     // 000000004BF8: 7E644132
	v_exp_f32_e32 v51, v51                                     // 000000004BFC: 7E664133
	v_exp_f32_e32 v52, v52                                     // 000000004C00: 7E684134
	v_exp_f32_e32 v53, v53                                     // 000000004C04: 7E6A4135
	buffer_load_dwordx4 a[4:7], v40, s[12:15], 0 offen         // 000000004C08: E05C1000 80830428
	v_add_f32_e64 v50, v50, 1.0                                // 000000004C10: D1010032 0001E532
	v_add_f32_e64 v51, v51, 1.0                                // 000000004C18: D1010033 0001E533
	v_add_f32_e64 v52, v52, 1.0                                // 000000004C20: D1010034 0001E534
	v_add_f32_e64 v53, v53, 1.0                                // 000000004C28: D1010035 0001E535
	v_rcp_f32_e32 v50, v50                                     // 000000004C30: 7E644532
	v_rcp_f32_e32 v51, v51                                     // 000000004C34: 7E664533
	v_rcp_f32_e32 v52, v52                                     // 000000004C38: 7E684534
	v_rcp_f32_e32 v53, v53                                     // 000000004C3C: 7E6A4535
	v_mul_f32_e32 v128, v128, v50                              // 000000004C40: 0B006580
	v_mul_f32_e32 v129, v129, v51                              // 000000004C44: 0B026781
	v_mul_f32_e32 v130, v130, v52                              // 000000004C48: 0B046982
	v_mul_f32_e32 v131, v131, v53                              // 000000004C4C: 0B066B83
	v_mul_f32_e32 v128, v128, v64                              // 000000004C50: 0B008180
	v_mul_f32_e32 v129, v129, v65                              // 000000004C54: 0B028381
	v_mul_f32_e32 v130, v130, v66                              // 000000004C58: 0B048582
	v_mul_f32_e32 v131, v131, v67                              // 000000004C5C: 0B068783
	buffer_load_dwordx4 a[8:11], v41, s[12:15], 0 offen        // 000000004C60: E05C1000 80830829
	v_mul_f32_e32 v50, v132, v132                              // 000000004C68: 0A650984
	v_mul_f32_e32 v51, v133, v133                              // 000000004C6C: 0A670B85
	v_mul_f32_e32 v52, v134, v134                              // 000000004C70: 0A690D86
	v_mul_f32_e32 v53, v135, v135                              // 000000004C74: 0A6B0F87
	v_fma_f32 v50, v50, s77, v1                                // 000000004C78: D1CB0032 04049B32
	v_fma_f32 v51, v51, s77, v1                                // 000000004C80: D1CB0033 04049B33
	v_fma_f32 v52, v52, s77, v1                                // 000000004C88: D1CB0034 04049B34
	v_fma_f32 v53, v53, s77, v1                                // 000000004C90: D1CB0035 04049B35
	v_mul_f32_e32 v50, v50, v132                               // 000000004C98: 0A650932
	v_mul_f32_e32 v51, v51, v133                               // 000000004C9C: 0A670B33
	v_mul_f32_e32 v52, v52, v134                               // 000000004CA0: 0A690D34
	v_mul_f32_e32 v53, v53, v135                               // 000000004CA4: 0A6B0F35
	v_mul_f32_e64 v50, v50, s6                                 // 000000004CA8: D1050032 00000D32
	v_mul_f32_e64 v51, v51, s6                                 // 000000004CB0: D1050033 00000D33
	v_mul_f32_e64 v52, v52, s6                                 // 000000004CB8: D1050034 00000D34
	v_mul_f32_e64 v53, v53, s6                                 // 000000004CC0: D1050035 00000D35
	v_exp_f32_e32 v50, v50                                     // 000000004CC8: 7E644132
	v_exp_f32_e32 v51, v51                                     // 000000004CCC: 7E664133
	v_exp_f32_e32 v52, v52                                     // 000000004CD0: 7E684134
	v_exp_f32_e32 v53, v53                                     // 000000004CD4: 7E6A4135
	buffer_load_dwordx4 a[12:15], v42, s[12:15], 0 offen       // 000000004CD8: E05C1000 80830C2A
	s_add_u32 s12, s78, s12                                    // 000000004CE0: 800C0C4E
	s_addc_u32 s13, 0, s13                                     // 000000004CE4: 820D0D80
	v_add_f32_e64 v50, v50, 1.0                                // 000000004CE8: D1010032 0001E532
	v_add_f32_e64 v51, v51, 1.0                                // 000000004CF0: D1010033 0001E533
	v_add_f32_e64 v52, v52, 1.0                                // 000000004CF8: D1010034 0001E534
	v_add_f32_e64 v53, v53, 1.0                                // 000000004D00: D1010035 0001E535
	v_rcp_f32_e32 v50, v50                                     // 000000004D08: 7E644532
	v_rcp_f32_e32 v51, v51                                     // 000000004D0C: 7E664533
	v_rcp_f32_e32 v52, v52                                     // 000000004D10: 7E684534
	v_rcp_f32_e32 v53, v53                                     // 000000004D14: 7E6A4535
	v_mul_f32_e32 v132, v132, v50                              // 000000004D18: 0B086584
	v_mul_f32_e32 v133, v133, v51                              // 000000004D1C: 0B0A6785
	v_mul_f32_e32 v134, v134, v52                              // 000000004D20: 0B0C6986
	v_mul_f32_e32 v135, v135, v53                              // 000000004D24: 0B0E6B87
	v_mul_f32_e32 v132, v132, v68                              // 000000004D28: 0B088984
	v_mul_f32_e32 v133, v133, v69                              // 000000004D2C: 0B0A8B85
	v_mul_f32_e32 v134, v134, v70                              // 000000004D30: 0B0C8D86
	v_mul_f32_e32 v135, v135, v71                              // 000000004D34: 0B0E8F87
	s_waitcnt vmcnt(16)                                        // 000000004D38: BF8C4F70
	buffer_load_dwordx4 a[16:19], v39, s[12:15], 0 offen       // 000000004D3C: E05C1000 80831027
	v_mul_f32_e32 v50, v136, v136                              // 000000004D44: 0A651188
	v_mul_f32_e32 v51, v137, v137                              // 000000004D48: 0A671389
	v_mul_f32_e32 v52, v138, v138                              // 000000004D4C: 0A69158A
	v_mul_f32_e32 v53, v139, v139                              // 000000004D50: 0A6B178B
	v_fma_f32 v50, v50, s77, v1                                // 000000004D54: D1CB0032 04049B32
	v_fma_f32 v51, v51, s77, v1                                // 000000004D5C: D1CB0033 04049B33
	v_fma_f32 v52, v52, s77, v1                                // 000000004D64: D1CB0034 04049B34
	v_fma_f32 v53, v53, s77, v1                                // 000000004D6C: D1CB0035 04049B35
	v_mul_f32_e32 v50, v50, v136                               // 000000004D74: 0A651132
	v_mul_f32_e32 v51, v51, v137                               // 000000004D78: 0A671333
	v_mul_f32_e32 v52, v52, v138                               // 000000004D7C: 0A691534
	v_mul_f32_e32 v53, v53, v139                               // 000000004D80: 0A6B1735
	v_mul_f32_e64 v50, v50, s6                                 // 000000004D84: D1050032 00000D32
	v_mul_f32_e64 v51, v51, s6                                 // 000000004D8C: D1050033 00000D33
	v_mul_f32_e64 v52, v52, s6                                 // 000000004D94: D1050034 00000D34
	v_mul_f32_e64 v53, v53, s6                                 // 000000004D9C: D1050035 00000D35
	v_exp_f32_e32 v50, v50                                     // 000000004DA4: 7E644132
	v_exp_f32_e32 v51, v51                                     // 000000004DA8: 7E664133
	v_exp_f32_e32 v52, v52                                     // 000000004DAC: 7E684134
	v_exp_f32_e32 v53, v53                                     // 000000004DB0: 7E6A4135
	buffer_load_dwordx4 a[20:23], v40, s[12:15], 0 offen       // 000000004DB4: E05C1000 80831428
	v_add_f32_e64 v50, v50, 1.0                                // 000000004DBC: D1010032 0001E532
	v_add_f32_e64 v51, v51, 1.0                                // 000000004DC4: D1010033 0001E533
	v_add_f32_e64 v52, v52, 1.0                                // 000000004DCC: D1010034 0001E534
	v_add_f32_e64 v53, v53, 1.0                                // 000000004DD4: D1010035 0001E535
	v_rcp_f32_e32 v50, v50                                     // 000000004DDC: 7E644532
	v_rcp_f32_e32 v51, v51                                     // 000000004DE0: 7E664533
	v_rcp_f32_e32 v52, v52                                     // 000000004DE4: 7E684534
	v_rcp_f32_e32 v53, v53                                     // 000000004DE8: 7E6A4535
	v_mul_f32_e32 v136, v136, v50                              // 000000004DEC: 0B106588
	v_mul_f32_e32 v137, v137, v51                              // 000000004DF0: 0B126789
	v_mul_f32_e32 v138, v138, v52                              // 000000004DF4: 0B14698A
	v_mul_f32_e32 v139, v139, v53                              // 000000004DF8: 0B166B8B
	v_mul_f32_e32 v136, v136, v72                              // 000000004DFC: 0B109188
	v_mul_f32_e32 v137, v137, v73                              // 000000004E00: 0B129389
	v_mul_f32_e32 v138, v138, v74                              // 000000004E04: 0B14958A
	v_mul_f32_e32 v139, v139, v75                              // 000000004E08: 0B16978B
	buffer_load_dwordx4 a[24:27], v41, s[12:15], 0 offen       // 000000004E0C: E05C1000 80831829
	v_mul_f32_e32 v50, v140, v140                              // 000000004E14: 0A65198C
	v_mul_f32_e32 v51, v141, v141                              // 000000004E18: 0A671B8D
	v_mul_f32_e32 v52, v142, v142                              // 000000004E1C: 0A691D8E
	v_mul_f32_e32 v53, v143, v143                              // 000000004E20: 0A6B1F8F
	v_fma_f32 v50, v50, s77, v1                                // 000000004E24: D1CB0032 04049B32
	v_fma_f32 v51, v51, s77, v1                                // 000000004E2C: D1CB0033 04049B33
	v_fma_f32 v52, v52, s77, v1                                // 000000004E34: D1CB0034 04049B34
	v_fma_f32 v53, v53, s77, v1                                // 000000004E3C: D1CB0035 04049B35
	v_mul_f32_e32 v50, v50, v140                               // 000000004E44: 0A651932
	v_mul_f32_e32 v51, v51, v141                               // 000000004E48: 0A671B33
	v_mul_f32_e32 v52, v52, v142                               // 000000004E4C: 0A691D34
	v_mul_f32_e32 v53, v53, v143                               // 000000004E50: 0A6B1F35
	v_mul_f32_e64 v50, v50, s6                                 // 000000004E54: D1050032 00000D32
	v_mul_f32_e64 v51, v51, s6                                 // 000000004E5C: D1050033 00000D33
	v_mul_f32_e64 v52, v52, s6                                 // 000000004E64: D1050034 00000D34
	v_mul_f32_e64 v53, v53, s6                                 // 000000004E6C: D1050035 00000D35
	v_exp_f32_e32 v50, v50                                     // 000000004E74: 7E644132
	v_exp_f32_e32 v51, v51                                     // 000000004E78: 7E664133
	v_exp_f32_e32 v52, v52                                     // 000000004E7C: 7E684134
	v_exp_f32_e32 v53, v53                                     // 000000004E80: 7E6A4135
	buffer_load_dwordx4 a[28:31], v42, s[12:15], 0 offen       // 000000004E84: E05C1000 80831C2A
	s_add_u32 s12, s78, s12                                    // 000000004E8C: 800C0C4E
	s_addc_u32 s13, 0, s13                                     // 000000004E90: 820D0D80
	v_add_f32_e64 v50, v50, 1.0                                // 000000004E94: D1010032 0001E532
	v_add_f32_e64 v51, v51, 1.0                                // 000000004E9C: D1010033 0001E533
	v_add_f32_e64 v52, v52, 1.0                                // 000000004EA4: D1010034 0001E534
	v_add_f32_e64 v53, v53, 1.0                                // 000000004EAC: D1010035 0001E535
	v_rcp_f32_e32 v50, v50                                     // 000000004EB4: 7E644532
	v_rcp_f32_e32 v51, v51                                     // 000000004EB8: 7E664533
	v_rcp_f32_e32 v52, v52                                     // 000000004EBC: 7E684534
	v_rcp_f32_e32 v53, v53                                     // 000000004EC0: 7E6A4535
	v_mul_f32_e32 v140, v140, v50                              // 000000004EC4: 0B18658C
	v_mul_f32_e32 v141, v141, v51                              // 000000004EC8: 0B1A678D
	v_mul_f32_e32 v142, v142, v52                              // 000000004ECC: 0B1C698E
	v_mul_f32_e32 v143, v143, v53                              // 000000004ED0: 0B1E6B8F
	v_mul_f32_e32 v140, v140, v76                              // 000000004ED4: 0B18998C
	v_mul_f32_e32 v141, v141, v77                              // 000000004ED8: 0B1A9B8D
	v_mul_f32_e32 v142, v142, v78                              // 000000004EDC: 0B1C9D8E
	v_mul_f32_e32 v143, v143, v79                              // 000000004EE0: 0B1E9F8F
	s_waitcnt vmcnt(16)                                        // 000000004EE4: BF8C4F70
	buffer_load_dwordx4 a[32:35], v39, s[12:15], 0 offen       // 000000004EE8: E05C1000 80832027
	v_mul_f32_e32 v50, v144, v144                              // 000000004EF0: 0A652190
	v_mul_f32_e32 v51, v145, v145                              // 000000004EF4: 0A672391
	v_mul_f32_e32 v52, v146, v146                              // 000000004EF8: 0A692592
	v_mul_f32_e32 v53, v147, v147                              // 000000004EFC: 0A6B2793
	v_fma_f32 v50, v50, s77, v1                                // 000000004F00: D1CB0032 04049B32
	v_fma_f32 v51, v51, s77, v1                                // 000000004F08: D1CB0033 04049B33
	v_fma_f32 v52, v52, s77, v1                                // 000000004F10: D1CB0034 04049B34
	v_fma_f32 v53, v53, s77, v1                                // 000000004F18: D1CB0035 04049B35
	v_mul_f32_e32 v50, v50, v144                               // 000000004F20: 0A652132
	v_mul_f32_e32 v51, v51, v145                               // 000000004F24: 0A672333
	v_mul_f32_e32 v52, v52, v146                               // 000000004F28: 0A692534
	v_mul_f32_e32 v53, v53, v147                               // 000000004F2C: 0A6B2735
	v_mul_f32_e64 v50, v50, s6                                 // 000000004F30: D1050032 00000D32
	v_mul_f32_e64 v51, v51, s6                                 // 000000004F38: D1050033 00000D33
	v_mul_f32_e64 v52, v52, s6                                 // 000000004F40: D1050034 00000D34
	v_mul_f32_e64 v53, v53, s6                                 // 000000004F48: D1050035 00000D35
	v_exp_f32_e32 v50, v50                                     // 000000004F50: 7E644132
	v_exp_f32_e32 v51, v51                                     // 000000004F54: 7E664133
	v_exp_f32_e32 v52, v52                                     // 000000004F58: 7E684134
	v_exp_f32_e32 v53, v53                                     // 000000004F5C: 7E6A4135
	buffer_load_dwordx4 a[36:39], v40, s[12:15], 0 offen       // 000000004F60: E05C1000 80832428
	v_add_f32_e64 v50, v50, 1.0                                // 000000004F68: D1010032 0001E532
	v_add_f32_e64 v51, v51, 1.0                                // 000000004F70: D1010033 0001E533
	v_add_f32_e64 v52, v52, 1.0                                // 000000004F78: D1010034 0001E534
	v_add_f32_e64 v53, v53, 1.0                                // 000000004F80: D1010035 0001E535
	v_rcp_f32_e32 v50, v50                                     // 000000004F88: 7E644532
	v_rcp_f32_e32 v51, v51                                     // 000000004F8C: 7E664533
	v_rcp_f32_e32 v52, v52                                     // 000000004F90: 7E684534
	v_rcp_f32_e32 v53, v53                                     // 000000004F94: 7E6A4535
	v_mul_f32_e32 v144, v144, v50                              // 000000004F98: 0B206590
	v_mul_f32_e32 v145, v145, v51                              // 000000004F9C: 0B226791
	v_mul_f32_e32 v146, v146, v52                              // 000000004FA0: 0B246992
	v_mul_f32_e32 v147, v147, v53                              // 000000004FA4: 0B266B93
	v_mul_f32_e32 v144, v144, v80                              // 000000004FA8: 0B20A190
	v_mul_f32_e32 v145, v145, v81                              // 000000004FAC: 0B22A391
	v_mul_f32_e32 v146, v146, v82                              // 000000004FB0: 0B24A592
	v_mul_f32_e32 v147, v147, v83                              // 000000004FB4: 0B26A793
	buffer_load_dwordx4 a[40:43], v41, s[12:15], 0 offen       // 000000004FB8: E05C1000 80832829
	v_mul_f32_e32 v50, v148, v148                              // 000000004FC0: 0A652994
	v_mul_f32_e32 v51, v149, v149                              // 000000004FC4: 0A672B95
	v_mul_f32_e32 v52, v150, v150                              // 000000004FC8: 0A692D96
	v_mul_f32_e32 v53, v151, v151                              // 000000004FCC: 0A6B2F97
	v_fma_f32 v50, v50, s77, v1                                // 000000004FD0: D1CB0032 04049B32
	v_fma_f32 v51, v51, s77, v1                                // 000000004FD8: D1CB0033 04049B33
	v_fma_f32 v52, v52, s77, v1                                // 000000004FE0: D1CB0034 04049B34
	v_fma_f32 v53, v53, s77, v1                                // 000000004FE8: D1CB0035 04049B35
	v_mul_f32_e32 v50, v50, v148                               // 000000004FF0: 0A652932
	v_mul_f32_e32 v51, v51, v149                               // 000000004FF4: 0A672B33
	v_mul_f32_e32 v52, v52, v150                               // 000000004FF8: 0A692D34
	v_mul_f32_e32 v53, v53, v151                               // 000000004FFC: 0A6B2F35
	v_mul_f32_e64 v50, v50, s6                                 // 000000005000: D1050032 00000D32
	v_mul_f32_e64 v51, v51, s6                                 // 000000005008: D1050033 00000D33
	v_mul_f32_e64 v52, v52, s6                                 // 000000005010: D1050034 00000D34
	v_mul_f32_e64 v53, v53, s6                                 // 000000005018: D1050035 00000D35
	v_exp_f32_e32 v50, v50                                     // 000000005020: 7E644132
	v_exp_f32_e32 v51, v51                                     // 000000005024: 7E664133
	v_exp_f32_e32 v52, v52                                     // 000000005028: 7E684134
	v_exp_f32_e32 v53, v53                                     // 00000000502C: 7E6A4135
	buffer_load_dwordx4 a[44:47], v42, s[12:15], 0 offen       // 000000005030: E05C1000 80832C2A
	s_add_u32 s12, s78, s12                                    // 000000005038: 800C0C4E
	s_addc_u32 s13, 0, s13                                     // 00000000503C: 820D0D80
	v_add_f32_e64 v50, v50, 1.0                                // 000000005040: D1010032 0001E532
	v_add_f32_e64 v51, v51, 1.0                                // 000000005048: D1010033 0001E533
	v_add_f32_e64 v52, v52, 1.0                                // 000000005050: D1010034 0001E534
	v_add_f32_e64 v53, v53, 1.0                                // 000000005058: D1010035 0001E535
	v_rcp_f32_e32 v50, v50                                     // 000000005060: 7E644532
	v_rcp_f32_e32 v51, v51                                     // 000000005064: 7E664533
	v_rcp_f32_e32 v52, v52                                     // 000000005068: 7E684534
	v_rcp_f32_e32 v53, v53                                     // 00000000506C: 7E6A4535
	v_mul_f32_e32 v148, v148, v50                              // 000000005070: 0B286594
	v_mul_f32_e32 v149, v149, v51                              // 000000005074: 0B2A6795
	v_mul_f32_e32 v150, v150, v52                              // 000000005078: 0B2C6996
	v_mul_f32_e32 v151, v151, v53                              // 00000000507C: 0B2E6B97
	v_mul_f32_e32 v148, v148, v84                              // 000000005080: 0B28A994
	v_mul_f32_e32 v149, v149, v85                              // 000000005084: 0B2AAB95
	v_mul_f32_e32 v150, v150, v86                              // 000000005088: 0B2CAD96
	v_mul_f32_e32 v151, v151, v87                              // 00000000508C: 0B2EAF97
	s_waitcnt vmcnt(16)                                        // 000000005090: BF8C4F70
	buffer_load_dwordx4 a[48:51], v39, s[12:15], 0 offen       // 000000005094: E05C1000 80833027
	v_mul_f32_e32 v50, v152, v152                              // 00000000509C: 0A653198
	v_mul_f32_e32 v51, v153, v153                              // 0000000050A0: 0A673399
	v_mul_f32_e32 v52, v154, v154                              // 0000000050A4: 0A69359A
	v_mul_f32_e32 v53, v155, v155                              // 0000000050A8: 0A6B379B
	v_fma_f32 v50, v50, s77, v1                                // 0000000050AC: D1CB0032 04049B32
	v_fma_f32 v51, v51, s77, v1                                // 0000000050B4: D1CB0033 04049B33
	v_fma_f32 v52, v52, s77, v1                                // 0000000050BC: D1CB0034 04049B34
	v_fma_f32 v53, v53, s77, v1                                // 0000000050C4: D1CB0035 04049B35
	v_mul_f32_e32 v50, v50, v152                               // 0000000050CC: 0A653132
	v_mul_f32_e32 v51, v51, v153                               // 0000000050D0: 0A673333
	v_mul_f32_e32 v52, v52, v154                               // 0000000050D4: 0A693534
	v_mul_f32_e32 v53, v53, v155                               // 0000000050D8: 0A6B3735
	v_mul_f32_e64 v50, v50, s6                                 // 0000000050DC: D1050032 00000D32
	v_mul_f32_e64 v51, v51, s6                                 // 0000000050E4: D1050033 00000D33
	v_mul_f32_e64 v52, v52, s6                                 // 0000000050EC: D1050034 00000D34
	v_mul_f32_e64 v53, v53, s6                                 // 0000000050F4: D1050035 00000D35
	v_exp_f32_e32 v50, v50                                     // 0000000050FC: 7E644132
	v_exp_f32_e32 v51, v51                                     // 000000005100: 7E664133
	v_exp_f32_e32 v52, v52                                     // 000000005104: 7E684134
	v_exp_f32_e32 v53, v53                                     // 000000005108: 7E6A4135
	buffer_load_dwordx4 a[52:55], v40, s[12:15], 0 offen       // 00000000510C: E05C1000 80833428
	v_add_f32_e64 v50, v50, 1.0                                // 000000005114: D1010032 0001E532
	v_add_f32_e64 v51, v51, 1.0                                // 00000000511C: D1010033 0001E533
	v_add_f32_e64 v52, v52, 1.0                                // 000000005124: D1010034 0001E534
	v_add_f32_e64 v53, v53, 1.0                                // 00000000512C: D1010035 0001E535
	v_rcp_f32_e32 v50, v50                                     // 000000005134: 7E644532
	v_rcp_f32_e32 v51, v51                                     // 000000005138: 7E664533
	v_rcp_f32_e32 v52, v52                                     // 00000000513C: 7E684534
	v_rcp_f32_e32 v53, v53                                     // 000000005140: 7E6A4535
	v_mul_f32_e32 v152, v152, v50                              // 000000005144: 0B306598
	v_mul_f32_e32 v153, v153, v51                              // 000000005148: 0B326799
	v_mul_f32_e32 v154, v154, v52                              // 00000000514C: 0B34699A
	v_mul_f32_e32 v155, v155, v53                              // 000000005150: 0B366B9B
	v_mul_f32_e32 v152, v152, v88                              // 000000005154: 0B30B198
	v_mul_f32_e32 v153, v153, v89                              // 000000005158: 0B32B399
	v_mul_f32_e32 v154, v154, v90                              // 00000000515C: 0B34B59A
	v_mul_f32_e32 v155, v155, v91                              // 000000005160: 0B36B79B
	buffer_load_dwordx4 a[56:59], v41, s[12:15], 0 offen       // 000000005164: E05C1000 80833829
	v_mul_f32_e32 v50, v156, v156                              // 00000000516C: 0A65399C
	v_mul_f32_e32 v51, v157, v157                              // 000000005170: 0A673B9D
	v_mul_f32_e32 v52, v158, v158                              // 000000005174: 0A693D9E
	v_mul_f32_e32 v53, v159, v159                              // 000000005178: 0A6B3F9F
	v_fma_f32 v50, v50, s77, v1                                // 00000000517C: D1CB0032 04049B32
	v_fma_f32 v51, v51, s77, v1                                // 000000005184: D1CB0033 04049B33
	v_fma_f32 v52, v52, s77, v1                                // 00000000518C: D1CB0034 04049B34
	v_fma_f32 v53, v53, s77, v1                                // 000000005194: D1CB0035 04049B35
	v_mul_f32_e32 v50, v50, v156                               // 00000000519C: 0A653932
	v_mul_f32_e32 v51, v51, v157                               // 0000000051A0: 0A673B33
	v_mul_f32_e32 v52, v52, v158                               // 0000000051A4: 0A693D34
	v_mul_f32_e32 v53, v53, v159                               // 0000000051A8: 0A6B3F35
	v_mul_f32_e64 v50, v50, s6                                 // 0000000051AC: D1050032 00000D32
	v_mul_f32_e64 v51, v51, s6                                 // 0000000051B4: D1050033 00000D33
	v_mul_f32_e64 v52, v52, s6                                 // 0000000051BC: D1050034 00000D34
	v_mul_f32_e64 v53, v53, s6                                 // 0000000051C4: D1050035 00000D35
	v_exp_f32_e32 v50, v50                                     // 0000000051CC: 7E644132
	v_exp_f32_e32 v51, v51                                     // 0000000051D0: 7E664133
	v_exp_f32_e32 v52, v52                                     // 0000000051D4: 7E684134
	v_exp_f32_e32 v53, v53                                     // 0000000051D8: 7E6A4135
	buffer_load_dwordx4 a[60:63], v42, s[12:15], 0 offen       // 0000000051DC: E05C1000 80833C2A
	s_add_u32 s12, s78, s12                                    // 0000000051E4: 800C0C4E
	s_addc_u32 s13, 0, s13                                     // 0000000051E8: 820D0D80
	v_add_f32_e64 v50, v50, 1.0                                // 0000000051EC: D1010032 0001E532
	v_add_f32_e64 v51, v51, 1.0                                // 0000000051F4: D1010033 0001E533
	v_add_f32_e64 v52, v52, 1.0                                // 0000000051FC: D1010034 0001E534
	v_add_f32_e64 v53, v53, 1.0                                // 000000005204: D1010035 0001E535
	v_rcp_f32_e32 v50, v50                                     // 00000000520C: 7E644532
	v_rcp_f32_e32 v51, v51                                     // 000000005210: 7E664533
	v_rcp_f32_e32 v52, v52                                     // 000000005214: 7E684534
	v_rcp_f32_e32 v53, v53                                     // 000000005218: 7E6A4535
	v_mul_f32_e32 v156, v156, v50                              // 00000000521C: 0B38659C
	v_mul_f32_e32 v157, v157, v51                              // 000000005220: 0B3A679D
	v_mul_f32_e32 v158, v158, v52                              // 000000005224: 0B3C699E
	v_mul_f32_e32 v159, v159, v53                              // 000000005228: 0B3E6B9F
	v_mul_f32_e32 v156, v156, v92                              // 00000000522C: 0B38B99C
	v_mul_f32_e32 v157, v157, v93                              // 000000005230: 0B3ABB9D
	v_mul_f32_e32 v158, v158, v94                              // 000000005234: 0B3CBD9E
	v_mul_f32_e32 v159, v159, v95                              // 000000005238: 0B3EBF9F
	s_waitcnt vmcnt(16)                                        // 00000000523C: BF8C4F70
	buffer_load_dwordx4 a[64:67], v39, s[12:15], 0 offen       // 000000005240: E05C1000 80834027
	v_mul_f32_e32 v50, v160, v160                              // 000000005248: 0A6541A0
	v_mul_f32_e32 v51, v161, v161                              // 00000000524C: 0A6743A1
	v_mul_f32_e32 v52, v162, v162                              // 000000005250: 0A6945A2
	v_mul_f32_e32 v53, v163, v163                              // 000000005254: 0A6B47A3
	v_fma_f32 v50, v50, s77, v1                                // 000000005258: D1CB0032 04049B32
	v_fma_f32 v51, v51, s77, v1                                // 000000005260: D1CB0033 04049B33
	v_fma_f32 v52, v52, s77, v1                                // 000000005268: D1CB0034 04049B34
	v_fma_f32 v53, v53, s77, v1                                // 000000005270: D1CB0035 04049B35
	v_mul_f32_e32 v50, v50, v160                               // 000000005278: 0A654132
	v_mul_f32_e32 v51, v51, v161                               // 00000000527C: 0A674333
	v_mul_f32_e32 v52, v52, v162                               // 000000005280: 0A694534
	v_mul_f32_e32 v53, v53, v163                               // 000000005284: 0A6B4735
	v_mul_f32_e64 v50, v50, s6                                 // 000000005288: D1050032 00000D32
	v_mul_f32_e64 v51, v51, s6                                 // 000000005290: D1050033 00000D33
	v_mul_f32_e64 v52, v52, s6                                 // 000000005298: D1050034 00000D34
	v_mul_f32_e64 v53, v53, s6                                 // 0000000052A0: D1050035 00000D35
	v_exp_f32_e32 v50, v50                                     // 0000000052A8: 7E644132
	v_exp_f32_e32 v51, v51                                     // 0000000052AC: 7E664133
	v_exp_f32_e32 v52, v52                                     // 0000000052B0: 7E684134
	v_exp_f32_e32 v53, v53                                     // 0000000052B4: 7E6A4135
	buffer_load_dwordx4 a[68:71], v40, s[12:15], 0 offen       // 0000000052B8: E05C1000 80834428
	v_add_f32_e64 v50, v50, 1.0                                // 0000000052C0: D1010032 0001E532
	v_add_f32_e64 v51, v51, 1.0                                // 0000000052C8: D1010033 0001E533
	v_add_f32_e64 v52, v52, 1.0                                // 0000000052D0: D1010034 0001E534
	v_add_f32_e64 v53, v53, 1.0                                // 0000000052D8: D1010035 0001E535
	v_rcp_f32_e32 v50, v50                                     // 0000000052E0: 7E644532
	v_rcp_f32_e32 v51, v51                                     // 0000000052E4: 7E664533
	v_rcp_f32_e32 v52, v52                                     // 0000000052E8: 7E684534
	v_rcp_f32_e32 v53, v53                                     // 0000000052EC: 7E6A4535
	v_mul_f32_e32 v160, v160, v50                              // 0000000052F0: 0B4065A0
	v_mul_f32_e32 v161, v161, v51                              // 0000000052F4: 0B4267A1
	v_mul_f32_e32 v162, v162, v52                              // 0000000052F8: 0B4469A2
	v_mul_f32_e32 v163, v163, v53                              // 0000000052FC: 0B466BA3
	v_mul_f32_e32 v160, v160, v96                              // 000000005300: 0B40C1A0
	v_mul_f32_e32 v161, v161, v97                              // 000000005304: 0B42C3A1
	v_mul_f32_e32 v162, v162, v98                              // 000000005308: 0B44C5A2
	v_mul_f32_e32 v163, v163, v99                              // 00000000530C: 0B46C7A3
	buffer_load_dwordx4 a[72:75], v41, s[12:15], 0 offen       // 000000005310: E05C1000 80834829
	v_mul_f32_e32 v50, v164, v164                              // 000000005318: 0A6549A4
	v_mul_f32_e32 v51, v165, v165                              // 00000000531C: 0A674BA5
	v_mul_f32_e32 v52, v166, v166                              // 000000005320: 0A694DA6
	v_mul_f32_e32 v53, v167, v167                              // 000000005324: 0A6B4FA7
	v_fma_f32 v50, v50, s77, v1                                // 000000005328: D1CB0032 04049B32
	v_fma_f32 v51, v51, s77, v1                                // 000000005330: D1CB0033 04049B33
	v_fma_f32 v52, v52, s77, v1                                // 000000005338: D1CB0034 04049B34
	v_fma_f32 v53, v53, s77, v1                                // 000000005340: D1CB0035 04049B35
	v_mul_f32_e32 v50, v50, v164                               // 000000005348: 0A654932
	v_mul_f32_e32 v51, v51, v165                               // 00000000534C: 0A674B33
	v_mul_f32_e32 v52, v52, v166                               // 000000005350: 0A694D34
	v_mul_f32_e32 v53, v53, v167                               // 000000005354: 0A6B4F35
	v_mul_f32_e64 v50, v50, s6                                 // 000000005358: D1050032 00000D32
	v_mul_f32_e64 v51, v51, s6                                 // 000000005360: D1050033 00000D33
	v_mul_f32_e64 v52, v52, s6                                 // 000000005368: D1050034 00000D34
	v_mul_f32_e64 v53, v53, s6                                 // 000000005370: D1050035 00000D35
	v_exp_f32_e32 v50, v50                                     // 000000005378: 7E644132
	v_exp_f32_e32 v51, v51                                     // 00000000537C: 7E664133
	v_exp_f32_e32 v52, v52                                     // 000000005380: 7E684134
	v_exp_f32_e32 v53, v53                                     // 000000005384: 7E6A4135
	buffer_load_dwordx4 a[76:79], v42, s[12:15], 0 offen       // 000000005388: E05C1000 80834C2A
	v_add_f32_e64 v50, v50, 1.0                                // 000000005390: D1010032 0001E532
	v_add_f32_e64 v51, v51, 1.0                                // 000000005398: D1010033 0001E533
	v_add_f32_e64 v52, v52, 1.0                                // 0000000053A0: D1010034 0001E534
	v_add_f32_e64 v53, v53, 1.0                                // 0000000053A8: D1010035 0001E535
	v_rcp_f32_e32 v50, v50                                     // 0000000053B0: 7E644532
	v_rcp_f32_e32 v51, v51                                     // 0000000053B4: 7E664533
	v_rcp_f32_e32 v52, v52                                     // 0000000053B8: 7E684534
	v_rcp_f32_e32 v53, v53                                     // 0000000053BC: 7E6A4535
	v_mul_f32_e32 v164, v164, v50                              // 0000000053C0: 0B4865A4
	v_mul_f32_e32 v165, v165, v51                              // 0000000053C4: 0B4A67A5
	v_mul_f32_e32 v166, v166, v52                              // 0000000053C8: 0B4C69A6
	v_mul_f32_e32 v167, v167, v53                              // 0000000053CC: 0B4E6BA7
	v_mul_f32_e32 v164, v164, v100                             // 0000000053D0: 0B48C9A4
	v_mul_f32_e32 v165, v165, v101                             // 0000000053D4: 0B4ACBA5
	v_mul_f32_e32 v166, v166, v102                             // 0000000053D8: 0B4CCDA6
	v_mul_f32_e32 v167, v167, v103                             // 0000000053DC: 0B4ECFA7
	v_lshlrev_b32_e32 v50, 2, v0                               // 0000000053E0: 24640082
	s_mul_i32 s60, s82, s71                                    // 0000000053E4: 923C4752
	v_add_u32_e64 v80, v50, s60                                // 0000000053E8: D1340050 00007932
	v_mov_b32_e32 v81, 0                                       // 0000000053F0: 7EA20280
	s_mul_i32 s60, s83, s71                                    // 0000000053F4: 923C4753
	v_add_u32_e64 v82, v50, s60                                // 0000000053F8: D1340052 00007932
	v_mov_b32_e32 v83, 0                                       // 000000005400: 7EA60280
	s_mul_i32 s60, s84, s71                                    // 000000005404: 923C4754
	v_add_u32_e64 v84, v50, s60                                // 000000005408: D1340054 00007932
	v_mov_b32_e32 v85, 0                                       // 000000005410: 7EAA0280
	s_mul_i32 s60, s85, s71                                    // 000000005414: 923C4755
	v_add_u32_e64 v86, v50, s60                                // 000000005418: D1340056 00007932
	v_mov_b32_e32 v87, 0                                       // 000000005420: 7EAE0280
	s_mul_i32 s60, s86, s71                                    // 000000005424: 923C4756
	v_add_u32_e64 v88, v50, s60                                // 000000005428: D1340058 00007932
	v_mov_b32_e32 v89, 0                                       // 000000005430: 7EB20280
	s_mul_i32 s60, s87, s71                                    // 000000005434: 923C4757
	v_add_u32_e64 v90, v50, s60                                // 000000005438: D134005A 00007932
	v_mov_b32_e32 v91, 0                                       // 000000005440: 7EB60280
	s_mul_i32 s60, s88, s71                                    // 000000005444: 923C4758
	v_add_u32_e64 v92, v50, s60                                // 000000005448: D134005C 00007932
	v_mov_b32_e32 v93, 0                                       // 000000005450: 7EBA0280
	s_mul_i32 s60, s89, s71                                    // 000000005454: 923C4759
	v_add_u32_e64 v94, v50, s60                                // 000000005458: D134005E 00007932
	v_mov_b32_e32 v95, 0                                       // 000000005460: 7EBE0280
	buffer_load_dword v12, v5, s[16:19], 0 offen               // 000000005464: E0501000 80040C05
	v_mov_b32_e32 v22, 0x358637bd                              // 00000000546C: 7E2C02FF 358637BD
	v_mov_b32_e32 v23, 0x358637bd                              // 000000005474: 7E2E02FF 358637BD
	v_max3_f32 v22, |v128|, |v129|, v22                        // 00000000547C: D1D30316 045B0380
	v_max3_f32 v22, |v130|, |v131|, v22                        // 000000005484: D1D30316 045B0782
	v_max3_f32 v23, |v132|, |v133|, v23                        // 00000000548C: D1D30317 045F0B84
	v_max3_f32 v23, |v134|, |v135|, v23                        // 000000005494: D1D30317 045F0F86
	v_max3_f32 v22, |v136|, |v137|, v22                        // 00000000549C: D1D30316 045B1388
	v_max3_f32 v22, |v138|, |v139|, v22                        // 0000000054A4: D1D30316 045B178A
	v_max3_f32 v23, |v140|, |v141|, v23                        // 0000000054AC: D1D30317 045F1B8C
	v_max3_f32 v23, |v142|, |v143|, v23                        // 0000000054B4: D1D30317 045F1F8E
	v_max3_f32 v22, |v144|, |v145|, v22                        // 0000000054BC: D1D30316 045B2390
	v_max3_f32 v22, |v146|, |v147|, v22                        // 0000000054C4: D1D30316 045B2792
	v_max3_f32 v23, |v148|, |v149|, v23                        // 0000000054CC: D1D30317 045F2B94
	v_max3_f32 v23, |v150|, |v151|, v23                        // 0000000054D4: D1D30317 045F2F96
	v_max3_f32 v22, |v152|, |v153|, v22                        // 0000000054DC: D1D30316 045B3398
	v_max3_f32 v22, |v154|, |v155|, v22                        // 0000000054E4: D1D30316 045B379A
	v_max3_f32 v23, |v156|, |v157|, v23                        // 0000000054EC: D1D30317 045F3B9C
	v_max3_f32 v23, |v158|, |v159|, v23                        // 0000000054F4: D1D30317 045F3F9E
	v_max3_f32 v22, |v160|, |v161|, v22                        // 0000000054FC: D1D30316 045B43A0
	v_max3_f32 v22, |v162|, |v163|, v22                        // 000000005504: D1D30316 045B47A2
	v_max3_f32 v23, |v164|, |v165|, v23                        // 00000000550C: D1D30317 045F4BA4
	v_max3_f32 v23, |v166|, |v167|, v23                        // 000000005514: D1D30317 045F4FA6
	v_lshlrev_b32_e32 v50, 3, v0                               // 00000000551C: 24640083
	s_mul_i32 s60, 0x200, s7                                   // 000000005520: 923C07FF 00000200
	v_add_u32_e32 v50, s60, v50                                // 000000005528: 6864643C
	ds_write_b64 v50, v[22:23] offset:16640                    // 00000000552C: D89A4100 00001632
	s_waitcnt lgkmcnt(0)                                       // 000000005534: BF8CC07F
	s_barrier                                                  // 000000005538: BF8A0000
	v_and_b32_e32 v50, 15, v0                                  // 00000000553C: 2664008F
	v_lshlrev_b32_e32 v50, 3, v50                              // 000000005540: 24646483
	ds_read_b64 v[96:97], v50 offset:16640                     // 000000005544: D8EC4100 60000032
	ds_read_b64 v[98:99], v50 offset:16768                     // 00000000554C: D8EC4180 62000032
	ds_read_b64 v[100:101], v50 offset:16896                   // 000000005554: D8EC4200 64000032
	ds_read_b64 v[102:103], v50 offset:17024                   // 00000000555C: D8EC4280 66000032
	ds_read_b64 v[104:105], v50 offset:17152                   // 000000005564: D8EC4300 68000032
	ds_read_b64 v[106:107], v50 offset:17280                   // 00000000556C: D8EC4380 6A000032
	ds_read_b64 v[108:109], v50 offset:17408                   // 000000005574: D8EC4400 6C000032
	ds_read_b64 v[110:111], v50 offset:17536                   // 00000000557C: D8EC4480 6E000032
	ds_read_b64 v[112:113], v50 offset:17664                   // 000000005584: D8EC4500 70000032
	ds_read_b64 v[114:115], v50 offset:17792                   // 00000000558C: D8EC4580 72000032
	ds_read_b64 v[116:117], v50 offset:17920                   // 000000005594: D8EC4600 74000032
	ds_read_b64 v[118:119], v50 offset:18048                   // 00000000559C: D8EC4680 76000032
	ds_read_b64 v[120:121], v50 offset:18176                   // 0000000055A4: D8EC4700 78000032
	ds_read_b64 v[122:123], v50 offset:18304                   // 0000000055AC: D8EC4780 7A000032
	ds_read_b64 v[124:125], v50 offset:18432                   // 0000000055B4: D8EC4800 7C000032
	ds_read_b64 v[126:127], v50 offset:18560                   // 0000000055BC: D8EC4880 7E000032
	s_waitcnt lgkmcnt(0)                                       // 0000000055C4: BF8CC07F
	v_max3_f32 v22, |v96|, |v98|, v22                          // 0000000055C8: D1D30316 045AC560
	v_max3_f32 v23, |v97|, |v99|, v23                          // 0000000055D0: D1D30317 045EC761
	v_max3_f32 v22, |v100|, |v102|, v22                        // 0000000055D8: D1D30316 045ACD64
	v_max3_f32 v23, |v101|, |v103|, v23                        // 0000000055E0: D1D30317 045ECF65
	v_max3_f32 v22, |v104|, |v106|, v22                        // 0000000055E8: D1D30316 045AD568
	v_max3_f32 v23, |v105|, |v107|, v23                        // 0000000055F0: D1D30317 045ED769
	v_max3_f32 v22, |v108|, |v110|, v22                        // 0000000055F8: D1D30316 045ADD6C
	v_max3_f32 v23, |v109|, |v111|, v23                        // 000000005600: D1D30317 045EDF6D
	v_max3_f32 v22, |v112|, |v114|, v22                        // 000000005608: D1D30316 045AE570
	v_max3_f32 v23, |v113|, |v115|, v23                        // 000000005610: D1D30317 045EE771
	v_max3_f32 v22, |v116|, |v118|, v22                        // 000000005618: D1D30316 045AED74
	v_max3_f32 v23, |v117|, |v119|, v23                        // 000000005620: D1D30317 045EEF75
	v_max3_f32 v22, |v120|, |v122|, v22                        // 000000005628: D1D30316 045AF578
	v_max3_f32 v23, |v121|, |v123|, v23                        // 000000005630: D1D30317 045EF779
	v_max3_f32 v22, |v124|, |v126|, v22                        // 000000005638: D1D30316 045AFD7C
	v_max3_f32 v23, |v125|, |v127|, v23                        // 000000005640: D1D30317 045EFF7D
	v_rcp_f32_e32 v22, v22                                     // 000000005648: 7E2C4516
	v_rcp_f32_e32 v23, v23                                     // 00000000564C: 7E2E4517
	v_mov_b32_e32 v50, 0x43700000                              // 000000005650: 7E6402FF 43700000
	v_mul_f32_e32 v22, v50, v22                                // 000000005658: 0A2C2D32
	v_mul_f32_e32 v23, v50, v23                                // 00000000565C: 0A2E2F32
	v_mul_f32_e32 v128, v22, v128                              // 000000005660: 0B010116
	v_mul_f32_e32 v129, v22, v129                              // 000000005664: 0B030316
	v_mul_f32_e32 v130, v22, v130                              // 000000005668: 0B050516
	v_mul_f32_e32 v131, v22, v131                              // 00000000566C: 0B070716
	v_cvt_pk_fp8_f32 v128, v128, v129                          // 000000005670: D2A20080 00030380
	v_cvt_pk_fp8_f32 v128, v130, v131 op_sel:[0,0,1]           // 000000005678: D2A24080 00030782
	v_mul_f32_e32 v132, v23, v132                              // 000000005680: 0B090917
	v_mul_f32_e32 v133, v23, v133                              // 000000005684: 0B0B0B17
	v_mul_f32_e32 v134, v23, v134                              // 000000005688: 0B0D0D17
	v_mul_f32_e32 v135, v23, v135                              // 00000000568C: 0B0F0F17
	v_cvt_pk_fp8_f32 v129, v132, v133                          // 000000005690: D2A20081 00030B84
	v_cvt_pk_fp8_f32 v129, v134, v135 op_sel:[0,0,1]           // 000000005698: D2A24081 00030F86
	v_mul_f32_e32 v136, v22, v136                              // 0000000056A0: 0B111116
	v_mul_f32_e32 v137, v22, v137                              // 0000000056A4: 0B131316
	v_mul_f32_e32 v138, v22, v138                              // 0000000056A8: 0B151516
	v_mul_f32_e32 v139, v22, v139                              // 0000000056AC: 0B171716
	v_cvt_pk_fp8_f32 v130, v136, v137                          // 0000000056B0: D2A20082 00031388
	v_cvt_pk_fp8_f32 v130, v138, v139 op_sel:[0,0,1]           // 0000000056B8: D2A24082 0003178A
	v_mul_f32_e32 v140, v23, v140                              // 0000000056C0: 0B191917
	v_mul_f32_e32 v141, v23, v141                              // 0000000056C4: 0B1B1B17
	v_mul_f32_e32 v142, v23, v142                              // 0000000056C8: 0B1D1D17
	v_mul_f32_e32 v143, v23, v143                              // 0000000056CC: 0B1F1F17
	v_cvt_pk_fp8_f32 v131, v140, v141                          // 0000000056D0: D2A20083 00031B8C
	v_cvt_pk_fp8_f32 v131, v142, v143 op_sel:[0,0,1]           // 0000000056D8: D2A24083 00031F8E
	v_mul_f32_e32 v144, v22, v144                              // 0000000056E0: 0B212116
	v_mul_f32_e32 v145, v22, v145                              // 0000000056E4: 0B232316
	v_mul_f32_e32 v146, v22, v146                              // 0000000056E8: 0B252516
	v_mul_f32_e32 v147, v22, v147                              // 0000000056EC: 0B272716
	v_cvt_pk_fp8_f32 v132, v144, v145                          // 0000000056F0: D2A20084 00032390
	v_cvt_pk_fp8_f32 v132, v146, v147 op_sel:[0,0,1]           // 0000000056F8: D2A24084 00032792
	v_mul_f32_e32 v148, v23, v148                              // 000000005700: 0B292917
	v_mul_f32_e32 v149, v23, v149                              // 000000005704: 0B2B2B17
	v_mul_f32_e32 v150, v23, v150                              // 000000005708: 0B2D2D17
	v_mul_f32_e32 v151, v23, v151                              // 00000000570C: 0B2F2F17
	v_cvt_pk_fp8_f32 v133, v148, v149                          // 000000005710: D2A20085 00032B94
	v_cvt_pk_fp8_f32 v133, v150, v151 op_sel:[0,0,1]           // 000000005718: D2A24085 00032F96
	v_mul_f32_e32 v152, v22, v152                              // 000000005720: 0B313116
	v_mul_f32_e32 v153, v22, v153                              // 000000005724: 0B333316
	v_mul_f32_e32 v154, v22, v154                              // 000000005728: 0B353516
	v_mul_f32_e32 v155, v22, v155                              // 00000000572C: 0B373716
	v_cvt_pk_fp8_f32 v134, v152, v153                          // 000000005730: D2A20086 00033398
	v_cvt_pk_fp8_f32 v134, v154, v155 op_sel:[0,0,1]           // 000000005738: D2A24086 0003379A
	v_mul_f32_e32 v156, v23, v156                              // 000000005740: 0B393917
	v_mul_f32_e32 v157, v23, v157                              // 000000005744: 0B3B3B17
	v_mul_f32_e32 v158, v23, v158                              // 000000005748: 0B3D3D17
	v_mul_f32_e32 v159, v23, v159                              // 00000000574C: 0B3F3F17
	v_cvt_pk_fp8_f32 v135, v156, v157                          // 000000005750: D2A20087 00033B9C
	v_cvt_pk_fp8_f32 v135, v158, v159 op_sel:[0,0,1]           // 000000005758: D2A24087 00033F9E
	v_mul_f32_e32 v160, v22, v160                              // 000000005760: 0B414116
	v_mul_f32_e32 v161, v22, v161                              // 000000005764: 0B434316
	v_mul_f32_e32 v162, v22, v162                              // 000000005768: 0B454516
	v_mul_f32_e32 v163, v22, v163                              // 00000000576C: 0B474716
	v_cvt_pk_fp8_f32 v136, v160, v161                          // 000000005770: D2A20088 000343A0
	v_cvt_pk_fp8_f32 v136, v162, v163 op_sel:[0,0,1]           // 000000005778: D2A24088 000347A2
	v_mul_f32_e32 v164, v23, v164                              // 000000005780: 0B494917
	v_mul_f32_e32 v165, v23, v165                              // 000000005784: 0B4B4B17
	v_mul_f32_e32 v166, v23, v166                              // 000000005788: 0B4D4D17
	v_mul_f32_e32 v167, v23, v167                              // 00000000578C: 0B4F4F17
	v_cvt_pk_fp8_f32 v137, v164, v165                          // 000000005790: D2A20089 00034BA4
	v_cvt_pk_fp8_f32 v137, v166, v167 op_sel:[0,0,1]           // 000000005798: D2A24089 00034FA6
	v_rcp_f32_e32 v24, v22                                     // 0000000057A0: 7E304516
	v_rcp_f32_e32 v25, v23                                     // 0000000057A4: 7E324517
	v_lshrrev_b32_e32 v50, 5, v0                               // 0000000057A8: 20640085
	v_lshlrev_b32_e32 v51, 5, v50                              // 0000000057AC: 24666485
	v_and_b32_e32 v50, 31, v0                                  // 0000000057B0: 2664009F
	v_lshrrev_b32_e32 v52, 4, v50                              // 0000000057B4: 20686484
	v_add_u32_e32 v51, v52, v51                                // 0000000057B8: 68666734
	v_and_b32_e32 v50, 15, v0                                  // 0000000057BC: 2664008F
	v_lshlrev_b32_e32 v50, 1, v50                              // 0000000057C0: 24646481
	v_add_u32_e32 v51, v50, v51                                // 0000000057C4: 68666732
	v_lshlrev_b32_e32 v50, 2, v51                              // 0000000057C8: 24646682
	s_mul_i32 s60, 0x100, s7                                   // 0000000057CC: 923C07FF 00000100
	v_add_u32_e64 v50, v50, s60                                // 0000000057D4: D1340032 00007932
	ds_write_b32 v50, v128 offset:18688                        // 0000000057DC: D81A4900 00008032
	ds_write_b32 v50, v129 offset:23808                        // 0000000057E4: D81A5D00 00008132
	ds_write_b32 v50, v130 offset:19712                        // 0000000057EC: D81A4D00 00008232
	ds_write_b32 v50, v131 offset:24832                        // 0000000057F4: D81A6100 00008332
	ds_write_b32 v50, v132 offset:20736                        // 0000000057FC: D81A5100 00008432
	ds_write_b32 v50, v133 offset:25856                        // 000000005804: D81A6500 00008532
	ds_write_b32 v50, v134 offset:21760                        // 00000000580C: D81A5500 00008632
	ds_write_b32 v50, v135 offset:26880                        // 000000005814: D81A6900 00008732
	ds_write_b32 v50, v136 offset:22784                        // 00000000581C: D81A5900 00008832
	ds_write_b32 v50, v137 offset:27904                        // 000000005824: D81A6D00 00008932
	s_waitcnt lgkmcnt(0)                                       // 00000000582C: BF8CC07F
	s_barrier                                                  // 000000005830: BF8A0000
	v_lshrrev_b32_e32 v50, 4, v0                               // 000000005834: 20640084
	v_lshlrev_b32_e32 v51, 6, v50                              // 000000005838: 24666486
	v_and_b32_e32 v50, 15, v0                                  // 00000000583C: 2664008F
	v_lshlrev_b32_e32 v50, 1, v50                              // 000000005840: 24646481
	v_add_u32_e32 v51, v50, v51                                // 000000005844: 68666732
	v_lshlrev_b32_e32 v50, 2, v51                              // 000000005848: 24646682
	ds_read_b64 v[128:129], v50 offset:18688                   // 00000000584C: D8EC4900 80000032
	ds_read_b64 v[130:131], v50 offset:18816                   // 000000005854: D8EC4980 82000032
	ds_read_b64 v[132:133], v50 offset:19712                   // 00000000585C: D8EC4D00 84000032
	ds_read_b64 v[134:135], v50 offset:19840                   // 000000005864: D8EC4D80 86000032
	ds_read_b64 v[136:137], v50 offset:20736                   // 00000000586C: D8EC5100 88000032
	ds_read_b64 v[138:139], v50 offset:20864                   // 000000005874: D8EC5180 8A000032
	ds_read_b64 v[140:141], v50 offset:21760                   // 00000000587C: D8EC5500 8C000032
	ds_read_b64 v[142:143], v50 offset:21888                   // 000000005884: D8EC5580 8E000032
	ds_read_b64 v[144:145], v50 offset:22784                   // 00000000588C: D8EC5900 90000032
	ds_read_b64 v[146:147], v50 offset:22912                   // 000000005894: D8EC5980 92000032
	ds_read_b64 v[148:149], v50 offset:23808                   // 00000000589C: D8EC5D00 94000032
	ds_read_b64 v[150:151], v50 offset:23936                   // 0000000058A4: D8EC5D80 96000032
	ds_read_b64 v[152:153], v50 offset:24832                   // 0000000058AC: D8EC6100 98000032
	ds_read_b64 v[154:155], v50 offset:24960                   // 0000000058B4: D8EC6180 9A000032
	ds_read_b64 v[156:157], v50 offset:25856                   // 0000000058BC: D8EC6500 9C000032
	ds_read_b64 v[158:159], v50 offset:25984                   // 0000000058C4: D8EC6580 9E000032
	ds_read_b64 v[160:161], v50 offset:26880                   // 0000000058CC: D8EC6900 A0000032
	ds_read_b64 v[162:163], v50 offset:27008                   // 0000000058D4: D8EC6980 A2000032
	ds_read_b64 v[164:165], v50 offset:27904                   // 0000000058DC: D8EC6D00 A4000032
	ds_read_b64 v[166:167], v50 offset:28032                   // 0000000058E4: D8EC6D80 A6000032
	s_add_u32 s12, s56, s12                                    // 0000000058EC: 800C0C38
	s_addc_u32 s13, 0, s13                                     // 0000000058F0: 820D0D80
	s_add_u32 s16, s79, s16                                    // 0000000058F4: 8010104F
	s_addc_u32 s17, 0, s17                                     // 0000000058F8: 82111180
	s_mov_b32 s80, 0                                           // 0000000058FC: BED00080
	s_waitcnt vmcnt(0) expcnt(0) lgkmcnt(0)                    // 000000005900: BF8C0000

0000000000005904 <label_0AC1>:
	s_waitcnt vmcnt(33)                                        // 000000005904: BF8C8F71
	s_barrier                                                  // 000000005908: BF8A0000
	v_mfma_f32_16x16x32_fp8_fp8 v[168:171], a[0:1], v[128:129], 0// 00000000590C: D3F300A8 0A030100
	v_mfma_f32_16x16x32_fp8_fp8 v[168:171], a[2:3], v[130:131], v[168:171]// 000000005914: D3F300A8 0EA30502
	buffer_load_dwordx4 a[80:83], v39, s[12:15], 0 offen       // 00000000591C: E05C1000 80835027
	v_mfma_f32_16x16x32_fp8_fp8 v[172:175], a[0:1], v[148:149], 0// 000000005924: D3F300AC 0A032900
	v_mfma_f32_16x16x32_fp8_fp8 v[172:175], a[2:3], v[150:151], v[172:175]// 00000000592C: D3F300AC 0EB32D02
	v_mfma_f32_16x16x32_fp8_fp8 v[176:179], a[4:5], v[128:129], 0// 000000005934: D3F300B0 0A030104
	v_mfma_f32_16x16x32_fp8_fp8 v[176:179], a[6:7], v[130:131], v[176:179]// 00000000593C: D3F300B0 0EC30506
	buffer_load_dwordx4 a[84:87], v40, s[12:15], 0 offen       // 000000005944: E05C1000 80835428
	v_mfma_f32_16x16x32_fp8_fp8 v[180:183], a[4:5], v[148:149], 0// 00000000594C: D3F300B4 0A032904
	v_mfma_f32_16x16x32_fp8_fp8 v[180:183], a[6:7], v[150:151], v[180:183]// 000000005954: D3F300B4 0ED32D06
	v_mfma_f32_16x16x32_fp8_fp8 v[184:187], a[8:9], v[128:129], 0// 00000000595C: D3F300B8 0A030108
	v_mfma_f32_16x16x32_fp8_fp8 v[184:187], a[10:11], v[130:131], v[184:187]// 000000005964: D3F300B8 0EE3050A
	buffer_load_dwordx4 a[88:91], v41, s[12:15], 0 offen       // 00000000596C: E05C1000 80835829
	v_mfma_f32_16x16x32_fp8_fp8 v[188:191], a[8:9], v[148:149], 0// 000000005974: D3F300BC 0A032908
	v_mfma_f32_16x16x32_fp8_fp8 v[188:191], a[10:11], v[150:151], v[188:191]// 00000000597C: D3F300BC 0EF32D0A
	v_mfma_f32_16x16x32_fp8_fp8 v[192:195], a[12:13], v[128:129], 0// 000000005984: D3F300C0 0A03010C
	v_mfma_f32_16x16x32_fp8_fp8 v[192:195], a[14:15], v[130:131], v[192:195]// 00000000598C: D3F300C0 0F03050E
	buffer_load_dwordx4 a[92:95], v42, s[12:15], 0 offen       // 000000005994: E05C1000 80835C2A
	s_add_u32 s12, s78, s12                                    // 00000000599C: 800C0C4E
	s_addc_u32 s13, 0, s13                                     // 0000000059A0: 820D0D80
	v_mfma_f32_16x16x32_fp8_fp8 v[196:199], a[12:13], v[148:149], 0// 0000000059A4: D3F300C4 0A03290C
	v_mfma_f32_16x16x32_fp8_fp8 v[196:199], a[14:15], v[150:151], v[196:199]// 0000000059AC: D3F300C4 0F132D0E
	s_waitcnt vmcnt(33)                                        // 0000000059B4: BF8C8F71
	v_mfma_f32_16x16x32_fp8_fp8 v[168:171], a[16:17], v[132:133], v[168:171]// 0000000059B8: D3F300A8 0EA30910
	v_mfma_f32_16x16x32_fp8_fp8 v[168:171], a[18:19], v[134:135], v[168:171]// 0000000059C0: D3F300A8 0EA30D12
	buffer_load_dwordx4 a[96:99], v39, s[12:15], 0 offen       // 0000000059C8: E05C1000 80836027
	v_mfma_f32_16x16x32_fp8_fp8 v[172:175], a[16:17], v[152:153], v[172:175]// 0000000059D0: D3F300AC 0EB33110
	v_mfma_f32_16x16x32_fp8_fp8 v[172:175], a[18:19], v[154:155], v[172:175]// 0000000059D8: D3F300AC 0EB33512
	v_mfma_f32_16x16x32_fp8_fp8 v[176:179], a[20:21], v[132:133], v[176:179]// 0000000059E0: D3F300B0 0EC30914
	v_mfma_f32_16x16x32_fp8_fp8 v[176:179], a[22:23], v[134:135], v[176:179]// 0000000059E8: D3F300B0 0EC30D16
	buffer_load_dwordx4 a[100:103], v40, s[12:15], 0 offen     // 0000000059F0: E05C1000 80836428
	v_mfma_f32_16x16x32_fp8_fp8 v[180:183], a[20:21], v[152:153], v[180:183]// 0000000059F8: D3F300B4 0ED33114
	v_mfma_f32_16x16x32_fp8_fp8 v[180:183], a[22:23], v[154:155], v[180:183]// 000000005A00: D3F300B4 0ED33516
	v_mfma_f32_16x16x32_fp8_fp8 v[184:187], a[24:25], v[132:133], v[184:187]// 000000005A08: D3F300B8 0EE30918
	v_mfma_f32_16x16x32_fp8_fp8 v[184:187], a[26:27], v[134:135], v[184:187]// 000000005A10: D3F300B8 0EE30D1A
	buffer_load_dwordx4 a[104:107], v41, s[12:15], 0 offen     // 000000005A18: E05C1000 80836829
	v_mfma_f32_16x16x32_fp8_fp8 v[188:191], a[24:25], v[152:153], v[188:191]// 000000005A20: D3F300BC 0EF33118
	v_mfma_f32_16x16x32_fp8_fp8 v[188:191], a[26:27], v[154:155], v[188:191]// 000000005A28: D3F300BC 0EF3351A
	v_mfma_f32_16x16x32_fp8_fp8 v[192:195], a[28:29], v[132:133], v[192:195]// 000000005A30: D3F300C0 0F03091C
	v_mfma_f32_16x16x32_fp8_fp8 v[192:195], a[30:31], v[134:135], v[192:195]// 000000005A38: D3F300C0 0F030D1E
	buffer_load_dwordx4 a[108:111], v42, s[12:15], 0 offen     // 000000005A40: E05C1000 80836C2A
	s_add_u32 s12, s78, s12                                    // 000000005A48: 800C0C4E
	s_addc_u32 s13, 0, s13                                     // 000000005A4C: 820D0D80
	v_mfma_f32_16x16x32_fp8_fp8 v[196:199], a[28:29], v[152:153], v[196:199]// 000000005A50: D3F300C4 0F13311C
	v_mfma_f32_16x16x32_fp8_fp8 v[196:199], a[30:31], v[154:155], v[196:199]// 000000005A58: D3F300C4 0F13351E
	s_waitcnt vmcnt(33)                                        // 000000005A60: BF8C8F71
	v_mfma_f32_16x16x32_fp8_fp8 v[168:171], a[32:33], v[136:137], v[168:171]// 000000005A64: D3F300A8 0EA31120
	v_mfma_f32_16x16x32_fp8_fp8 v[168:171], a[34:35], v[138:139], v[168:171]// 000000005A6C: D3F300A8 0EA31522
	buffer_load_dwordx4 a[112:115], v39, s[12:15], 0 offen     // 000000005A74: E05C1000 80837027
	v_mfma_f32_16x16x32_fp8_fp8 v[172:175], a[32:33], v[156:157], v[172:175]// 000000005A7C: D3F300AC 0EB33920
	v_mfma_f32_16x16x32_fp8_fp8 v[172:175], a[34:35], v[158:159], v[172:175]// 000000005A84: D3F300AC 0EB33D22
	v_mfma_f32_16x16x32_fp8_fp8 v[176:179], a[36:37], v[136:137], v[176:179]// 000000005A8C: D3F300B0 0EC31124
	v_mfma_f32_16x16x32_fp8_fp8 v[176:179], a[38:39], v[138:139], v[176:179]// 000000005A94: D3F300B0 0EC31526
	buffer_load_dwordx4 a[116:119], v40, s[12:15], 0 offen     // 000000005A9C: E05C1000 80837428
	v_mfma_f32_16x16x32_fp8_fp8 v[180:183], a[36:37], v[156:157], v[180:183]// 000000005AA4: D3F300B4 0ED33924
	v_mfma_f32_16x16x32_fp8_fp8 v[180:183], a[38:39], v[158:159], v[180:183]// 000000005AAC: D3F300B4 0ED33D26
	v_mfma_f32_16x16x32_fp8_fp8 v[184:187], a[40:41], v[136:137], v[184:187]// 000000005AB4: D3F300B8 0EE31128
	v_mfma_f32_16x16x32_fp8_fp8 v[184:187], a[42:43], v[138:139], v[184:187]// 000000005ABC: D3F300B8 0EE3152A
	buffer_load_dwordx4 a[120:123], v41, s[12:15], 0 offen     // 000000005AC4: E05C1000 80837829
	v_mfma_f32_16x16x32_fp8_fp8 v[188:191], a[40:41], v[156:157], v[188:191]// 000000005ACC: D3F300BC 0EF33928
	v_mfma_f32_16x16x32_fp8_fp8 v[188:191], a[42:43], v[158:159], v[188:191]// 000000005AD4: D3F300BC 0EF33D2A
	v_mfma_f32_16x16x32_fp8_fp8 v[192:195], a[44:45], v[136:137], v[192:195]// 000000005ADC: D3F300C0 0F03112C
	v_mfma_f32_16x16x32_fp8_fp8 v[192:195], a[46:47], v[138:139], v[192:195]// 000000005AE4: D3F300C0 0F03152E
	buffer_load_dwordx4 a[124:127], v42, s[12:15], 0 offen     // 000000005AEC: E05C1000 80837C2A
	s_add_u32 s12, s78, s12                                    // 000000005AF4: 800C0C4E
	s_addc_u32 s13, 0, s13                                     // 000000005AF8: 820D0D80
	v_mfma_f32_16x16x32_fp8_fp8 v[196:199], a[44:45], v[156:157], v[196:199]// 000000005AFC: D3F300C4 0F13392C
	v_mfma_f32_16x16x32_fp8_fp8 v[196:199], a[46:47], v[158:159], v[196:199]// 000000005B04: D3F300C4 0F133D2E
	s_waitcnt vmcnt(33)                                        // 000000005B0C: BF8C8F71
	v_mfma_f32_16x16x32_fp8_fp8 v[168:171], a[48:49], v[140:141], v[168:171]// 000000005B10: D3F300A8 0EA31930
	v_mfma_f32_16x16x32_fp8_fp8 v[168:171], a[50:51], v[142:143], v[168:171]// 000000005B18: D3F300A8 0EA31D32
	buffer_load_dwordx4 a[128:131], v39, s[12:15], 0 offen     // 000000005B20: E05C1000 80838027
	v_mfma_f32_16x16x32_fp8_fp8 v[172:175], a[48:49], v[160:161], v[172:175]// 000000005B28: D3F300AC 0EB34130
	v_mfma_f32_16x16x32_fp8_fp8 v[172:175], a[50:51], v[162:163], v[172:175]// 000000005B30: D3F300AC 0EB34532
	v_mfma_f32_16x16x32_fp8_fp8 v[176:179], a[52:53], v[140:141], v[176:179]// 000000005B38: D3F300B0 0EC31934
	v_mfma_f32_16x16x32_fp8_fp8 v[176:179], a[54:55], v[142:143], v[176:179]// 000000005B40: D3F300B0 0EC31D36
	buffer_load_dwordx4 a[132:135], v40, s[12:15], 0 offen     // 000000005B48: E05C1000 80838428
	v_mfma_f32_16x16x32_fp8_fp8 v[180:183], a[52:53], v[160:161], v[180:183]// 000000005B50: D3F300B4 0ED34134
	v_mfma_f32_16x16x32_fp8_fp8 v[180:183], a[54:55], v[162:163], v[180:183]// 000000005B58: D3F300B4 0ED34536
	v_mfma_f32_16x16x32_fp8_fp8 v[184:187], a[56:57], v[140:141], v[184:187]// 000000005B60: D3F300B8 0EE31938
	v_mfma_f32_16x16x32_fp8_fp8 v[184:187], a[58:59], v[142:143], v[184:187]// 000000005B68: D3F300B8 0EE31D3A
	buffer_load_dwordx4 a[136:139], v41, s[12:15], 0 offen     // 000000005B70: E05C1000 80838829
	v_mfma_f32_16x16x32_fp8_fp8 v[188:191], a[56:57], v[160:161], v[188:191]// 000000005B78: D3F300BC 0EF34138
	v_mfma_f32_16x16x32_fp8_fp8 v[188:191], a[58:59], v[162:163], v[188:191]// 000000005B80: D3F300BC 0EF3453A
	v_mfma_f32_16x16x32_fp8_fp8 v[192:195], a[60:61], v[140:141], v[192:195]// 000000005B88: D3F300C0 0F03193C
	v_mfma_f32_16x16x32_fp8_fp8 v[192:195], a[62:63], v[142:143], v[192:195]// 000000005B90: D3F300C0 0F031D3E
	buffer_load_dwordx4 a[140:143], v42, s[12:15], 0 offen     // 000000005B98: E05C1000 80838C2A
	s_add_u32 s12, s78, s12                                    // 000000005BA0: 800C0C4E
	s_addc_u32 s13, 0, s13                                     // 000000005BA4: 820D0D80
	v_mfma_f32_16x16x32_fp8_fp8 v[196:199], a[60:61], v[160:161], v[196:199]// 000000005BA8: D3F300C4 0F13413C
	v_mfma_f32_16x16x32_fp8_fp8 v[196:199], a[62:63], v[162:163], v[196:199]// 000000005BB0: D3F300C4 0F13453E
	s_waitcnt vmcnt(32)                                        // 000000005BB8: BF8C8F70
	v_mfma_f32_16x16x32_fp8_fp8 v[168:171], a[64:65], v[144:145], v[168:171]// 000000005BBC: D3F300A8 0EA32140
	v_mfma_f32_16x16x32_fp8_fp8 v[168:171], a[66:67], v[146:147], v[168:171]// 000000005BC4: D3F300A8 0EA32542
	buffer_load_dwordx4 a[144:147], v39, s[12:15], 0 offen     // 000000005BCC: E05C1000 80839027
	v_mfma_f32_16x16x32_fp8_fp8 v[172:175], a[64:65], v[164:165], v[172:175]// 000000005BD4: D3F300AC 0EB34940
	v_mfma_f32_16x16x32_fp8_fp8 v[172:175], a[66:67], v[166:167], v[172:175]// 000000005BDC: D3F300AC 0EB34D42
	buffer_load_dword v13, v5, s[16:19], 0 offen               // 000000005BE4: E0501000 80040D05
	v_mfma_f32_16x16x32_fp8_fp8 v[176:179], a[68:69], v[144:145], v[176:179]// 000000005BEC: D3F300B0 0EC32144
	v_mfma_f32_16x16x32_fp8_fp8 v[176:179], a[70:71], v[146:147], v[176:179]// 000000005BF4: D3F300B0 0EC32546
	buffer_load_dwordx4 a[148:151], v40, s[12:15], 0 offen     // 000000005BFC: E05C1000 80839428
	v_mfma_f32_16x16x32_fp8_fp8 v[180:183], a[68:69], v[164:165], v[180:183]// 000000005C04: D3F300B4 0ED34944
	v_mfma_f32_16x16x32_fp8_fp8 v[180:183], a[70:71], v[166:167], v[180:183]// 000000005C0C: D3F300B4 0ED34D46
	v_mfma_f32_16x16x32_fp8_fp8 v[184:187], a[72:73], v[144:145], v[184:187]// 000000005C14: D3F300B8 0EE32148
	v_mfma_f32_16x16x32_fp8_fp8 v[184:187], a[74:75], v[146:147], v[184:187]// 000000005C1C: D3F300B8 0EE3254A
	buffer_load_dwordx4 a[152:155], v41, s[12:15], 0 offen     // 000000005C24: E05C1000 80839829
	v_mfma_f32_16x16x32_fp8_fp8 v[188:191], a[72:73], v[164:165], v[188:191]// 000000005C2C: D3F300BC 0EF34948
	v_mfma_f32_16x16x32_fp8_fp8 v[188:191], a[74:75], v[166:167], v[188:191]// 000000005C34: D3F300BC 0EF34D4A
	v_mfma_f32_16x16x32_fp8_fp8 v[192:195], a[76:77], v[144:145], v[192:195]// 000000005C3C: D3F300C0 0F03214C
	v_mfma_f32_16x16x32_fp8_fp8 v[192:195], a[78:79], v[146:147], v[192:195]// 000000005C44: D3F300C0 0F03254E
	buffer_load_dwordx4 a[156:159], v42, s[12:15], 0 offen     // 000000005C4C: E05C1000 80839C2A
	v_mfma_f32_16x16x32_fp8_fp8 v[196:199], a[76:77], v[164:165], v[196:199]// 000000005C54: D3F300C4 0F13494C
	v_mfma_f32_16x16x32_fp8_fp8 v[196:199], a[78:79], v[166:167], v[196:199]// 000000005C5C: D3F300C4 0F134D4E
	s_add_u32 s60, 0x200, s80                                  // 000000005C64: 803C50FF 00000200
	s_cmp_lt_u32 s60, s81                                      // 000000005C6C: BF0A513C
	s_cselect_b32 s56, s56, 0                                  // 000000005C70: 85388038
	s_cselect_b32 s78, s78, 0                                  // 000000005C74: 854E804E
	s_cselect_b32 s79, s79, 0                                  // 000000005C78: 854F804F
	s_add_u32 s12, s56, s12                                    // 000000005C7C: 800C0C38
	s_addc_u32 s13, 0, s13                                     // 000000005C80: 820D0D80
	s_add_u32 s16, s79, s16                                    // 000000005C84: 8010104F
	s_addc_u32 s17, 0, s17                                     // 000000005C88: 82111180
	v_mul_f32_e32 v168, v24, v168                              // 000000005C8C: 0B515118
	v_mul_f32_e32 v169, v24, v169                              // 000000005C90: 0B535318
	v_mul_f32_e32 v170, v24, v170                              // 000000005C94: 0B555518
	v_mul_f32_e32 v171, v24, v171                              // 000000005C98: 0B575718
	v_mul_f32_dpp v168, v12, v168 row_newbcast:0 row_mask:0xf bank_mask:0xf// 000000005C9C: 0B5150FA FF01500C
	v_mul_f32_dpp v169, v12, v169 row_newbcast:1 row_mask:0xf bank_mask:0xf// 000000005CA4: 0B5352FA FF01510C
	v_mul_f32_dpp v170, v12, v170 row_newbcast:2 row_mask:0xf bank_mask:0xf// 000000005CAC: 0B5554FA FF01520C
	v_mul_f32_dpp v171, v12, v171 row_newbcast:3 row_mask:0xf bank_mask:0xf// 000000005CB4: 0B5756FA FF01530C
	v_mul_f32_e32 v168, v20, v168                              // 000000005CBC: 0B515114
	v_mul_f32_e32 v169, v20, v169                              // 000000005CC0: 0B535314
	v_mul_f32_e32 v170, v20, v170                              // 000000005CC4: 0B555514
	v_mul_f32_e32 v171, v20, v171                              // 000000005CC8: 0B575714
	v_mul_f32_e32 v172, v25, v172                              // 000000005CCC: 0B595919
	v_mul_f32_e32 v173, v25, v173                              // 000000005CD0: 0B5B5B19
	v_mul_f32_e32 v174, v25, v174                              // 000000005CD4: 0B5D5D19
	v_mul_f32_e32 v175, v25, v175                              // 000000005CD8: 0B5F5F19
	v_mul_f32_dpp v172, v12, v172 row_newbcast:0 row_mask:0xf bank_mask:0xf// 000000005CDC: 0B5958FA FF01500C
	v_mul_f32_dpp v173, v12, v173 row_newbcast:1 row_mask:0xf bank_mask:0xf// 000000005CE4: 0B5B5AFA FF01510C
	v_mul_f32_dpp v174, v12, v174 row_newbcast:2 row_mask:0xf bank_mask:0xf// 000000005CEC: 0B5D5CFA FF01520C
	v_mul_f32_dpp v175, v12, v175 row_newbcast:3 row_mask:0xf bank_mask:0xf// 000000005CF4: 0B5F5EFA FF01530C
	v_mul_f32_e32 v172, v21, v172                              // 000000005CFC: 0B595915
	v_mul_f32_e32 v173, v21, v173                              // 000000005D00: 0B5B5B15
	v_mul_f32_e32 v174, v21, v174                              // 000000005D04: 0B5D5D15
	v_mul_f32_e32 v175, v21, v175                              // 000000005D08: 0B5F5F15
	v_mul_f32_e32 v176, v24, v176                              // 000000005D0C: 0B616118
	v_mul_f32_e32 v177, v24, v177                              // 000000005D10: 0B636318
	v_mul_f32_e32 v178, v24, v178                              // 000000005D14: 0B656518
	v_mul_f32_e32 v179, v24, v179                              // 000000005D18: 0B676718
	v_mul_f32_dpp v176, v12, v176 row_newbcast:4 row_mask:0xf bank_mask:0xf// 000000005D1C: 0B6160FA FF01540C
	v_mul_f32_dpp v177, v12, v177 row_newbcast:5 row_mask:0xf bank_mask:0xf// 000000005D24: 0B6362FA FF01550C
	v_mul_f32_dpp v178, v12, v178 row_newbcast:6 row_mask:0xf bank_mask:0xf// 000000005D2C: 0B6564FA FF01560C
	v_mul_f32_dpp v179, v12, v179 row_newbcast:7 row_mask:0xf bank_mask:0xf// 000000005D34: 0B6766FA FF01570C
	v_mul_f32_e32 v176, v20, v176                              // 000000005D3C: 0B616114
	v_mul_f32_e32 v177, v20, v177                              // 000000005D40: 0B636314
	v_mul_f32_e32 v178, v20, v178                              // 000000005D44: 0B656514
	v_mul_f32_e32 v179, v20, v179                              // 000000005D48: 0B676714
	v_mul_f32_e32 v180, v25, v180                              // 000000005D4C: 0B696919
	v_mul_f32_e32 v181, v25, v181                              // 000000005D50: 0B6B6B19
	v_mul_f32_e32 v182, v25, v182                              // 000000005D54: 0B6D6D19
	v_mul_f32_e32 v183, v25, v183                              // 000000005D58: 0B6F6F19
	v_mul_f32_dpp v180, v12, v180 row_newbcast:4 row_mask:0xf bank_mask:0xf// 000000005D5C: 0B6968FA FF01540C
	v_mul_f32_dpp v181, v12, v181 row_newbcast:5 row_mask:0xf bank_mask:0xf// 000000005D64: 0B6B6AFA FF01550C
	v_mul_f32_dpp v182, v12, v182 row_newbcast:6 row_mask:0xf bank_mask:0xf// 000000005D6C: 0B6D6CFA FF01560C
	v_mul_f32_dpp v183, v12, v183 row_newbcast:7 row_mask:0xf bank_mask:0xf// 000000005D74: 0B6F6EFA FF01570C
	v_mul_f32_e32 v180, v21, v180                              // 000000005D7C: 0B696915
	v_mul_f32_e32 v181, v21, v181                              // 000000005D80: 0B6B6B15
	v_mul_f32_e32 v182, v21, v182                              // 000000005D84: 0B6D6D15
	v_mul_f32_e32 v183, v21, v183                              // 000000005D88: 0B6F6F15
	v_mul_f32_e32 v184, v24, v184                              // 000000005D8C: 0B717118
	v_mul_f32_e32 v185, v24, v185                              // 000000005D90: 0B737318
	v_mul_f32_e32 v186, v24, v186                              // 000000005D94: 0B757518
	v_mul_f32_e32 v187, v24, v187                              // 000000005D98: 0B777718
	v_mul_f32_dpp v184, v12, v184 row_newbcast:8 row_mask:0xf bank_mask:0xf// 000000005D9C: 0B7170FA FF01580C
	v_mul_f32_dpp v185, v12, v185 row_newbcast:9 row_mask:0xf bank_mask:0xf// 000000005DA4: 0B7372FA FF01590C
	v_mul_f32_dpp v186, v12, v186 row_newbcast:10 row_mask:0xf bank_mask:0xf// 000000005DAC: 0B7574FA FF015A0C
	v_mul_f32_dpp v187, v12, v187 row_newbcast:11 row_mask:0xf bank_mask:0xf// 000000005DB4: 0B7776FA FF015B0C
	v_mul_f32_e32 v184, v20, v184                              // 000000005DBC: 0B717114
	v_mul_f32_e32 v185, v20, v185                              // 000000005DC0: 0B737314
	v_mul_f32_e32 v186, v20, v186                              // 000000005DC4: 0B757514
	v_mul_f32_e32 v187, v20, v187                              // 000000005DC8: 0B777714
	v_mul_f32_e32 v188, v25, v188                              // 000000005DCC: 0B797919
	v_mul_f32_e32 v189, v25, v189                              // 000000005DD0: 0B7B7B19
	v_mul_f32_e32 v190, v25, v190                              // 000000005DD4: 0B7D7D19
	v_mul_f32_e32 v191, v25, v191                              // 000000005DD8: 0B7F7F19
	v_mul_f32_dpp v188, v12, v188 row_newbcast:8 row_mask:0xf bank_mask:0xf// 000000005DDC: 0B7978FA FF01580C
	v_mul_f32_dpp v189, v12, v189 row_newbcast:9 row_mask:0xf bank_mask:0xf// 000000005DE4: 0B7B7AFA FF01590C
	v_mul_f32_dpp v190, v12, v190 row_newbcast:10 row_mask:0xf bank_mask:0xf// 000000005DEC: 0B7D7CFA FF015A0C
	v_mul_f32_dpp v191, v12, v191 row_newbcast:11 row_mask:0xf bank_mask:0xf// 000000005DF4: 0B7F7EFA FF015B0C
	v_mul_f32_e32 v188, v21, v188                              // 000000005DFC: 0B797915
	v_mul_f32_e32 v189, v21, v189                              // 000000005E00: 0B7B7B15
	v_mul_f32_e32 v190, v21, v190                              // 000000005E04: 0B7D7D15
	v_mul_f32_e32 v191, v21, v191                              // 000000005E08: 0B7F7F15
	v_mul_f32_e32 v192, v24, v192                              // 000000005E0C: 0B818118
	v_mul_f32_e32 v193, v24, v193                              // 000000005E10: 0B838318
	v_mul_f32_e32 v194, v24, v194                              // 000000005E14: 0B858518
	v_mul_f32_e32 v195, v24, v195                              // 000000005E18: 0B878718
	v_mul_f32_dpp v192, v12, v192 row_newbcast:12 row_mask:0xf bank_mask:0xf// 000000005E1C: 0B8180FA FF015C0C
	v_mul_f32_dpp v193, v12, v193 row_newbcast:13 row_mask:0xf bank_mask:0xf// 000000005E24: 0B8382FA FF015D0C
	v_mul_f32_dpp v194, v12, v194 row_newbcast:14 row_mask:0xf bank_mask:0xf// 000000005E2C: 0B8584FA FF015E0C
	v_mul_f32_dpp v195, v12, v195 row_newbcast:15 row_mask:0xf bank_mask:0xf// 000000005E34: 0B8786FA FF015F0C
	v_mul_f32_e32 v192, v20, v192                              // 000000005E3C: 0B818114
	v_mul_f32_e32 v193, v20, v193                              // 000000005E40: 0B838314
	v_mul_f32_e32 v194, v20, v194                              // 000000005E44: 0B858514
	v_mul_f32_e32 v195, v20, v195                              // 000000005E48: 0B878714
	v_mul_f32_e32 v196, v25, v196                              // 000000005E4C: 0B898919
	v_mul_f32_e32 v197, v25, v197                              // 000000005E50: 0B8B8B19
	v_mul_f32_e32 v198, v25, v198                              // 000000005E54: 0B8D8D19
	v_mul_f32_e32 v199, v25, v199                              // 000000005E58: 0B8F8F19
	v_mul_f32_dpp v196, v12, v196 row_newbcast:12 row_mask:0xf bank_mask:0xf// 000000005E5C: 0B8988FA FF015C0C
	v_mul_f32_dpp v197, v12, v197 row_newbcast:13 row_mask:0xf bank_mask:0xf// 000000005E64: 0B8B8AFA FF015D0C
	v_mul_f32_dpp v198, v12, v198 row_newbcast:14 row_mask:0xf bank_mask:0xf// 000000005E6C: 0B8D8CFA FF015E0C
	v_mul_f32_dpp v199, v12, v199 row_newbcast:15 row_mask:0xf bank_mask:0xf// 000000005E74: 0B8F8EFA FF015F0C
	v_mul_f32_e32 v196, v21, v196                              // 000000005E7C: 0B898915
	v_mul_f32_e32 v197, v21, v197                              // 000000005E80: 0B8B8B15
	v_mul_f32_e32 v198, v21, v198                              // 000000005E84: 0B8D8D15
	v_mul_f32_e32 v199, v21, v199                              // 000000005E88: 0B8F8F15
	v_cmp_u_f32_e64 s[48:49], v168, v168                       // 000000005E8C: D0480030 000351A8
	v_add3_u32 v43, v168, v46, 1                               // 000000005E94: D1FF002B 02065DA8
	v_cndmask_b32_e64 v50, v43, v45, s[48:49]                  // 000000005E9C: D1000032 00C25B2B
	v_cmp_u_f32_e64 s[48:49], v169, v169                       // 000000005EA4: D0480030 000353A9
	v_add3_u32 v43, v169, v46, 1                               // 000000005EAC: D1FF002B 02065DA9
	v_cndmask_b32_e64 v51, v43, v45, s[48:49]                  // 000000005EB4: D1000033 00C25B2B
	v_perm_b32 v168, v51, v50, s52                             // 000000005EBC: D1ED00A8 00D26533
	v_cmp_u_f32_e64 s[48:49], v170, v170                       // 000000005EC4: D0480030 000355AA
	v_add3_u32 v43, v170, v46, 1                               // 000000005ECC: D1FF002B 02065DAA
	v_cndmask_b32_e64 v50, v43, v45, s[48:49]                  // 000000005ED4: D1000032 00C25B2B
	v_cmp_u_f32_e64 s[48:49], v171, v171                       // 000000005EDC: D0480030 000357AB
	v_add3_u32 v43, v171, v46, 1                               // 000000005EE4: D1FF002B 02065DAB
	v_cndmask_b32_e64 v51, v43, v45, s[48:49]                  // 000000005EEC: D1000033 00C25B2B
	v_perm_b32 v169, v51, v50, s52                             // 000000005EF4: D1ED00A9 00D26533
	v_cmp_u_f32_e64 s[48:49], v172, v172                       // 000000005EFC: D0480030 000359AC
	v_add3_u32 v43, v172, v46, 1                               // 000000005F04: D1FF002B 02065DAC
	v_cndmask_b32_e64 v50, v43, v45, s[48:49]                  // 000000005F0C: D1000032 00C25B2B
	v_cmp_u_f32_e64 s[48:49], v173, v173                       // 000000005F14: D0480030 00035BAD
	v_add3_u32 v43, v173, v46, 1                               // 000000005F1C: D1FF002B 02065DAD
	v_cndmask_b32_e64 v51, v43, v45, s[48:49]                  // 000000005F24: D1000033 00C25B2B
	v_perm_b32 v170, v51, v50, s52                             // 000000005F2C: D1ED00AA 00D26533
	v_cmp_u_f32_e64 s[48:49], v174, v174                       // 000000005F34: D0480030 00035DAE
	v_add3_u32 v43, v174, v46, 1                               // 000000005F3C: D1FF002B 02065DAE
	v_cndmask_b32_e64 v50, v43, v45, s[48:49]                  // 000000005F44: D1000032 00C25B2B
	v_cmp_u_f32_e64 s[48:49], v175, v175                       // 000000005F4C: D0480030 00035FAF
	v_add3_u32 v43, v175, v46, 1                               // 000000005F54: D1FF002B 02065DAF
	v_cndmask_b32_e64 v51, v43, v45, s[48:49]                  // 000000005F5C: D1000033 00C25B2B
	v_perm_b32 v171, v51, v50, s52                             // 000000005F64: D1ED00AB 00D26533
	v_cmp_u_f32_e64 s[48:49], v176, v176                       // 000000005F6C: D0480030 000361B0
	v_add3_u32 v43, v176, v46, 1                               // 000000005F74: D1FF002B 02065DB0
	v_cndmask_b32_e64 v50, v43, v45, s[48:49]                  // 000000005F7C: D1000032 00C25B2B
	v_cmp_u_f32_e64 s[48:49], v177, v177                       // 000000005F84: D0480030 000363B1
	v_add3_u32 v43, v177, v46, 1                               // 000000005F8C: D1FF002B 02065DB1
	v_cndmask_b32_e64 v51, v43, v45, s[48:49]                  // 000000005F94: D1000033 00C25B2B
	v_perm_b32 v172, v51, v50, s52                             // 000000005F9C: D1ED00AC 00D26533
	v_cmp_u_f32_e64 s[48:49], v178, v178                       // 000000005FA4: D0480030 000365B2
	v_add3_u32 v43, v178, v46, 1                               // 000000005FAC: D1FF002B 02065DB2
	v_cndmask_b32_e64 v50, v43, v45, s[48:49]                  // 000000005FB4: D1000032 00C25B2B
	v_cmp_u_f32_e64 s[48:49], v179, v179                       // 000000005FBC: D0480030 000367B3
	v_add3_u32 v43, v179, v46, 1                               // 000000005FC4: D1FF002B 02065DB3
	v_cndmask_b32_e64 v51, v43, v45, s[48:49]                  // 000000005FCC: D1000033 00C25B2B
	v_perm_b32 v173, v51, v50, s52                             // 000000005FD4: D1ED00AD 00D26533
	v_cmp_u_f32_e64 s[48:49], v180, v180                       // 000000005FDC: D0480030 000369B4
	v_add3_u32 v43, v180, v46, 1                               // 000000005FE4: D1FF002B 02065DB4
	v_cndmask_b32_e64 v50, v43, v45, s[48:49]                  // 000000005FEC: D1000032 00C25B2B
	v_cmp_u_f32_e64 s[48:49], v181, v181                       // 000000005FF4: D0480030 00036BB5
	v_add3_u32 v43, v181, v46, 1                               // 000000005FFC: D1FF002B 02065DB5
	v_cndmask_b32_e64 v51, v43, v45, s[48:49]                  // 000000006004: D1000033 00C25B2B
	v_perm_b32 v174, v51, v50, s52                             // 00000000600C: D1ED00AE 00D26533
	v_cmp_u_f32_e64 s[48:49], v182, v182                       // 000000006014: D0480030 00036DB6
	v_add3_u32 v43, v182, v46, 1                               // 00000000601C: D1FF002B 02065DB6
	v_cndmask_b32_e64 v50, v43, v45, s[48:49]                  // 000000006024: D1000032 00C25B2B
	v_cmp_u_f32_e64 s[48:49], v183, v183                       // 00000000602C: D0480030 00036FB7
	v_add3_u32 v43, v183, v46, 1                               // 000000006034: D1FF002B 02065DB7
	v_cndmask_b32_e64 v51, v43, v45, s[48:49]                  // 00000000603C: D1000033 00C25B2B
	v_perm_b32 v175, v51, v50, s52                             // 000000006044: D1ED00AF 00D26533
	v_cmp_u_f32_e64 s[48:49], v184, v184                       // 00000000604C: D0480030 000371B8
	v_add3_u32 v43, v184, v46, 1                               // 000000006054: D1FF002B 02065DB8
	v_cndmask_b32_e64 v50, v43, v45, s[48:49]                  // 00000000605C: D1000032 00C25B2B
	v_cmp_u_f32_e64 s[48:49], v185, v185                       // 000000006064: D0480030 000373B9
	v_add3_u32 v43, v185, v46, 1                               // 00000000606C: D1FF002B 02065DB9
	v_cndmask_b32_e64 v51, v43, v45, s[48:49]                  // 000000006074: D1000033 00C25B2B
	v_perm_b32 v176, v51, v50, s52                             // 00000000607C: D1ED00B0 00D26533
	v_cmp_u_f32_e64 s[48:49], v186, v186                       // 000000006084: D0480030 000375BA
	v_add3_u32 v43, v186, v46, 1                               // 00000000608C: D1FF002B 02065DBA
	v_cndmask_b32_e64 v50, v43, v45, s[48:49]                  // 000000006094: D1000032 00C25B2B
	v_cmp_u_f32_e64 s[48:49], v187, v187                       // 00000000609C: D0480030 000377BB
	v_add3_u32 v43, v187, v46, 1                               // 0000000060A4: D1FF002B 02065DBB
	v_cndmask_b32_e64 v51, v43, v45, s[48:49]                  // 0000000060AC: D1000033 00C25B2B
	v_perm_b32 v177, v51, v50, s52                             // 0000000060B4: D1ED00B1 00D26533
	v_cmp_u_f32_e64 s[48:49], v188, v188                       // 0000000060BC: D0480030 000379BC
	v_add3_u32 v43, v188, v46, 1                               // 0000000060C4: D1FF002B 02065DBC
	v_cndmask_b32_e64 v50, v43, v45, s[48:49]                  // 0000000060CC: D1000032 00C25B2B
	v_cmp_u_f32_e64 s[48:49], v189, v189                       // 0000000060D4: D0480030 00037BBD
	v_add3_u32 v43, v189, v46, 1                               // 0000000060DC: D1FF002B 02065DBD
	v_cndmask_b32_e64 v51, v43, v45, s[48:49]                  // 0000000060E4: D1000033 00C25B2B
	v_perm_b32 v178, v51, v50, s52                             // 0000000060EC: D1ED00B2 00D26533
	v_cmp_u_f32_e64 s[48:49], v190, v190                       // 0000000060F4: D0480030 00037DBE
	v_add3_u32 v43, v190, v46, 1                               // 0000000060FC: D1FF002B 02065DBE
	v_cndmask_b32_e64 v50, v43, v45, s[48:49]                  // 000000006104: D1000032 00C25B2B
	v_cmp_u_f32_e64 s[48:49], v191, v191                       // 00000000610C: D0480030 00037FBF
	v_add3_u32 v43, v191, v46, 1                               // 000000006114: D1FF002B 02065DBF
	v_cndmask_b32_e64 v51, v43, v45, s[48:49]                  // 00000000611C: D1000033 00C25B2B
	v_perm_b32 v179, v51, v50, s52                             // 000000006124: D1ED00B3 00D26533
	v_cmp_u_f32_e64 s[48:49], v192, v192                       // 00000000612C: D0480030 000381C0
	v_add3_u32 v43, v192, v46, 1                               // 000000006134: D1FF002B 02065DC0
	v_cndmask_b32_e64 v50, v43, v45, s[48:49]                  // 00000000613C: D1000032 00C25B2B
	v_cmp_u_f32_e64 s[48:49], v193, v193                       // 000000006144: D0480030 000383C1
	v_add3_u32 v43, v193, v46, 1                               // 00000000614C: D1FF002B 02065DC1
	v_cndmask_b32_e64 v51, v43, v45, s[48:49]                  // 000000006154: D1000033 00C25B2B
	v_perm_b32 v180, v51, v50, s52                             // 00000000615C: D1ED00B4 00D26533
	v_cmp_u_f32_e64 s[48:49], v194, v194                       // 000000006164: D0480030 000385C2
	v_add3_u32 v43, v194, v46, 1                               // 00000000616C: D1FF002B 02065DC2
	v_cndmask_b32_e64 v50, v43, v45, s[48:49]                  // 000000006174: D1000032 00C25B2B
	v_cmp_u_f32_e64 s[48:49], v195, v195                       // 00000000617C: D0480030 000387C3
	v_add3_u32 v43, v195, v46, 1                               // 000000006184: D1FF002B 02065DC3
	v_cndmask_b32_e64 v51, v43, v45, s[48:49]                  // 00000000618C: D1000033 00C25B2B
	v_perm_b32 v181, v51, v50, s52                             // 000000006194: D1ED00B5 00D26533
	v_cmp_u_f32_e64 s[48:49], v196, v196                       // 00000000619C: D0480030 000389C4
	v_add3_u32 v43, v196, v46, 1                               // 0000000061A4: D1FF002B 02065DC4
	v_cndmask_b32_e64 v50, v43, v45, s[48:49]                  // 0000000061AC: D1000032 00C25B2B
	v_cmp_u_f32_e64 s[48:49], v197, v197                       // 0000000061B4: D0480030 00038BC5
	v_add3_u32 v43, v197, v46, 1                               // 0000000061BC: D1FF002B 02065DC5
	v_cndmask_b32_e64 v51, v43, v45, s[48:49]                  // 0000000061C4: D1000033 00C25B2B
	v_perm_b32 v182, v51, v50, s52                             // 0000000061CC: D1ED00B6 00D26533
	v_cmp_u_f32_e64 s[48:49], v198, v198                       // 0000000061D4: D0480030 00038DC6
	v_add3_u32 v43, v198, v46, 1                               // 0000000061DC: D1FF002B 02065DC6
	v_cndmask_b32_e64 v50, v43, v45, s[48:49]                  // 0000000061E4: D1000032 00C25B2B
	v_cmp_u_f32_e64 s[48:49], v199, v199                       // 0000000061EC: D0480030 00038FC7
	v_add3_u32 v43, v199, v46, 1                               // 0000000061F4: D1FF002B 02065DC7
	v_cndmask_b32_e64 v51, v43, v45, s[48:49]                  // 0000000061FC: D1000033 00C25B2B
	v_perm_b32 v183, v51, v50, s52                             // 000000006204: D1ED00B7 00D26533
	ds_write_b64 v3, v[168:169] offset:28928                   // 00000000620C: D89A7100 0000A803
	ds_write_b64 v3, v[170:171] offset:37632                   // 000000006214: D89A9300 0000AA03
	ds_write_b64 v3, v[172:173] offset:31104                   // 00000000621C: D89A7980 0000AC03
	ds_write_b64 v3, v[174:175] offset:39808                   // 000000006224: D89A9B80 0000AE03
	ds_write_b64 v3, v[176:177] offset:33280                   // 00000000622C: D89A8200 0000B003
	ds_write_b64 v3, v[178:179] offset:41984                   // 000000006234: D89AA400 0000B203
	ds_write_b64 v3, v[180:181] offset:35456                   // 00000000623C: D89A8A80 0000B403
	ds_write_b64 v3, v[182:183] offset:44160                   // 000000006244: D89AAC80 0000B603
	s_waitcnt lgkmcnt(0)                                       // 00000000624C: BF8CC07F
	s_barrier                                                  // 000000006250: BF8A0000
	ds_read_b32 v64, v4 offset:28928                           // 000000006254: D86C7100 40000004
	ds_read_b32 v65, v4 offset:33280                           // 00000000625C: D86C8200 41000004
	ds_read_b32 v66, v4 offset:28960                           // 000000006264: D86C7120 42000004
	ds_read_b32 v67, v4 offset:33312                           // 00000000626C: D86C8220 43000004
	ds_read_b32 v68, v4 offset:28992                           // 000000006274: D86C7140 44000004
	ds_read_b32 v69, v4 offset:33344                           // 00000000627C: D86C8240 45000004
	ds_read_b32 v70, v4 offset:29024                           // 000000006284: D86C7160 46000004
	ds_read_b32 v71, v4 offset:33376                           // 00000000628C: D86C8260 47000004
	ds_read_b32 v72, v4 offset:37632                           // 000000006294: D86C9300 48000004
	ds_read_b32 v73, v4 offset:41984                           // 00000000629C: D86CA400 49000004
	ds_read_b32 v74, v4 offset:37664                           // 0000000062A4: D86C9320 4A000004
	ds_read_b32 v75, v4 offset:42016                           // 0000000062AC: D86CA420 4B000004
	ds_read_b32 v76, v4 offset:37696                           // 0000000062B4: D86C9340 4C000004
	ds_read_b32 v77, v4 offset:42048                           // 0000000062BC: D86CA440 4D000004
	ds_read_b32 v78, v4 offset:37728                           // 0000000062C4: D86C9360 4E000004
	ds_read_b32 v79, v4 offset:42080                           // 0000000062CC: D86CA460 4F000004
	s_waitcnt lgkmcnt(0)                                       // 0000000062D4: BF8CC07F
	s_mov_b64 exec, s[20:21]                                   // 0000000062D8: BEFE0114
	global_atomic_pk_add_bf16 v80, v64, s[8:9]                 // 0000000062DC: DD488000 00084050
	s_mov_b64 exec, s[36:37]                                   // 0000000062E4: BEFE0124
	s_mov_b64 exec, s[20:21]                                   // 0000000062E8: BEFE0114
	global_atomic_pk_add_bf16 v80, v65, s[8:9] offset:256      // 0000000062EC: DD488100 00084150
	s_mov_b64 exec, s[36:37]                                   // 0000000062F4: BEFE0124
	s_mov_b64 exec, s[22:23]                                   // 0000000062F8: BEFE0116
	global_atomic_pk_add_bf16 v82, v66, s[8:9]                 // 0000000062FC: DD488000 00084252
	s_mov_b64 exec, s[36:37]                                   // 000000006304: BEFE0124
	s_mov_b64 exec, s[22:23]                                   // 000000006308: BEFE0116
	global_atomic_pk_add_bf16 v82, v67, s[8:9] offset:256      // 00000000630C: DD488100 00084352
	s_mov_b64 exec, s[36:37]                                   // 000000006314: BEFE0124
	s_mov_b64 exec, s[24:25]                                   // 000000006318: BEFE0118
	global_atomic_pk_add_bf16 v84, v68, s[8:9]                 // 00000000631C: DD488000 00084454
	s_mov_b64 exec, s[36:37]                                   // 000000006324: BEFE0124
	s_mov_b64 exec, s[24:25]                                   // 000000006328: BEFE0118
	global_atomic_pk_add_bf16 v84, v69, s[8:9] offset:256      // 00000000632C: DD488100 00084554
	s_mov_b64 exec, s[36:37]                                   // 000000006334: BEFE0124
	s_mov_b64 exec, s[26:27]                                   // 000000006338: BEFE011A
	global_atomic_pk_add_bf16 v86, v70, s[8:9]                 // 00000000633C: DD488000 00084656
	s_mov_b64 exec, s[36:37]                                   // 000000006344: BEFE0124
	s_mov_b64 exec, s[26:27]                                   // 000000006348: BEFE011A
	global_atomic_pk_add_bf16 v86, v71, s[8:9] offset:256      // 00000000634C: DD488100 00084756
	s_mov_b64 exec, s[36:37]                                   // 000000006354: BEFE0124
	s_mov_b64 exec, s[28:29]                                   // 000000006358: BEFE011C
	global_atomic_pk_add_bf16 v88, v72, s[8:9]                 // 00000000635C: DD488000 00084858
	s_mov_b64 exec, s[36:37]                                   // 000000006364: BEFE0124
	s_mov_b64 exec, s[28:29]                                   // 000000006368: BEFE011C
	global_atomic_pk_add_bf16 v88, v73, s[8:9] offset:256      // 00000000636C: DD488100 00084958
	s_mov_b64 exec, s[36:37]                                   // 000000006374: BEFE0124
	s_mov_b64 exec, s[30:31]                                   // 000000006378: BEFE011E
	global_atomic_pk_add_bf16 v90, v74, s[8:9]                 // 00000000637C: DD488000 00084A5A
	s_mov_b64 exec, s[36:37]                                   // 000000006384: BEFE0124
	s_mov_b64 exec, s[30:31]                                   // 000000006388: BEFE011E
	global_atomic_pk_add_bf16 v90, v75, s[8:9] offset:256      // 00000000638C: DD488100 00084B5A
	s_mov_b64 exec, s[36:37]                                   // 000000006394: BEFE0124
	s_mov_b64 exec, s[32:33]                                   // 000000006398: BEFE0120
	global_atomic_pk_add_bf16 v92, v76, s[8:9]                 // 00000000639C: DD488000 00084C5C
	s_mov_b64 exec, s[36:37]                                   // 0000000063A4: BEFE0124
	s_mov_b64 exec, s[32:33]                                   // 0000000063A8: BEFE0120
	global_atomic_pk_add_bf16 v92, v77, s[8:9] offset:256      // 0000000063AC: DD488100 00084D5C
	s_mov_b64 exec, s[36:37]                                   // 0000000063B4: BEFE0124
	s_mov_b64 exec, s[34:35]                                   // 0000000063B8: BEFE0122
	global_atomic_pk_add_bf16 v94, v78, s[8:9]                 // 0000000063BC: DD488000 00084E5E
	s_mov_b64 exec, s[36:37]                                   // 0000000063C4: BEFE0124
	s_mov_b64 exec, s[34:35]                                   // 0000000063C8: BEFE0122
	global_atomic_pk_add_bf16 v94, v79, s[8:9] offset:256      // 0000000063CC: DD488100 00084F5E
	s_mov_b64 exec, s[36:37]                                   // 0000000063D4: BEFE0124
	s_add_u32 s8, s59, s8                                      // 0000000063D8: 8008083B
	s_addc_u32 s9, 0, s9                                       // 0000000063DC: 82090980
	s_addk_i32 s80, 0x100                                      // 0000000063E0: B7500100
	s_cmp_lt_i32 s80, s81                                      // 0000000063E4: BF045150
	s_cbranch_scc0 label_1036                                  // 0000000063E8: BF8402BB
	s_waitcnt vmcnt(33)                                        // 0000000063EC: BF8C8F71
	s_barrier                                                  // 0000000063F0: BF8A0000
	v_mfma_f32_16x16x32_fp8_fp8 v[200:203], a[80:81], v[128:129], 0// 0000000063F4: D3F300C8 0A030150
	v_mfma_f32_16x16x32_fp8_fp8 v[200:203], a[82:83], v[130:131], v[200:203]// 0000000063FC: D3F300C8 0F230552
	buffer_load_dwordx4 a[0:3], v39, s[12:15], 0 offen         // 000000006404: E05C1000 80830027
	v_mfma_f32_16x16x32_fp8_fp8 v[204:207], a[80:81], v[148:149], 0// 00000000640C: D3F300CC 0A032950
	v_mfma_f32_16x16x32_fp8_fp8 v[204:207], a[82:83], v[150:151], v[204:207]// 000000006414: D3F300CC 0F332D52
	v_mfma_f32_16x16x32_fp8_fp8 v[208:211], a[84:85], v[128:129], 0// 00000000641C: D3F300D0 0A030154
	v_mfma_f32_16x16x32_fp8_fp8 v[208:211], a[86:87], v[130:131], v[208:211]// 000000006424: D3F300D0 0F430556
	buffer_load_dwordx4 a[4:7], v40, s[12:15], 0 offen         // 00000000642C: E05C1000 80830428
	v_mfma_f32_16x16x32_fp8_fp8 v[212:215], a[84:85], v[148:149], 0// 000000006434: D3F300D4 0A032954
	v_mfma_f32_16x16x32_fp8_fp8 v[212:215], a[86:87], v[150:151], v[212:215]// 00000000643C: D3F300D4 0F532D56
	v_mfma_f32_16x16x32_fp8_fp8 v[216:219], a[88:89], v[128:129], 0// 000000006444: D3F300D8 0A030158
	v_mfma_f32_16x16x32_fp8_fp8 v[216:219], a[90:91], v[130:131], v[216:219]// 00000000644C: D3F300D8 0F63055A
	buffer_load_dwordx4 a[8:11], v41, s[12:15], 0 offen        // 000000006454: E05C1000 80830829
	v_mfma_f32_16x16x32_fp8_fp8 v[220:223], a[88:89], v[148:149], 0// 00000000645C: D3F300DC 0A032958
	v_mfma_f32_16x16x32_fp8_fp8 v[220:223], a[90:91], v[150:151], v[220:223]// 000000006464: D3F300DC 0F732D5A
	v_mfma_f32_16x16x32_fp8_fp8 v[224:227], a[92:93], v[128:129], 0// 00000000646C: D3F300E0 0A03015C
	v_mfma_f32_16x16x32_fp8_fp8 v[224:227], a[94:95], v[130:131], v[224:227]// 000000006474: D3F300E0 0F83055E
	buffer_load_dwordx4 a[12:15], v42, s[12:15], 0 offen       // 00000000647C: E05C1000 80830C2A
	s_add_u32 s12, s78, s12                                    // 000000006484: 800C0C4E
	s_addc_u32 s13, 0, s13                                     // 000000006488: 820D0D80
	v_mfma_f32_16x16x32_fp8_fp8 v[228:231], a[92:93], v[148:149], 0// 00000000648C: D3F300E4 0A03295C
	v_mfma_f32_16x16x32_fp8_fp8 v[228:231], a[94:95], v[150:151], v[228:231]// 000000006494: D3F300E4 0F932D5E
	s_waitcnt vmcnt(33)                                        // 00000000649C: BF8C8F71
	v_mfma_f32_16x16x32_fp8_fp8 v[200:203], a[96:97], v[132:133], v[200:203]// 0000000064A0: D3F300C8 0F230960
	v_mfma_f32_16x16x32_fp8_fp8 v[200:203], a[98:99], v[134:135], v[200:203]// 0000000064A8: D3F300C8 0F230D62
	buffer_load_dwordx4 a[16:19], v39, s[12:15], 0 offen       // 0000000064B0: E05C1000 80831027
	v_mfma_f32_16x16x32_fp8_fp8 v[204:207], a[96:97], v[152:153], v[204:207]// 0000000064B8: D3F300CC 0F333160
	v_mfma_f32_16x16x32_fp8_fp8 v[204:207], a[98:99], v[154:155], v[204:207]// 0000000064C0: D3F300CC 0F333562
	v_mfma_f32_16x16x32_fp8_fp8 v[208:211], a[100:101], v[132:133], v[208:211]// 0000000064C8: D3F300D0 0F430964
	v_mfma_f32_16x16x32_fp8_fp8 v[208:211], a[102:103], v[134:135], v[208:211]// 0000000064D0: D3F300D0 0F430D66
	buffer_load_dwordx4 a[20:23], v40, s[12:15], 0 offen       // 0000000064D8: E05C1000 80831428
	v_mfma_f32_16x16x32_fp8_fp8 v[212:215], a[100:101], v[152:153], v[212:215]// 0000000064E0: D3F300D4 0F533164
	v_mfma_f32_16x16x32_fp8_fp8 v[212:215], a[102:103], v[154:155], v[212:215]// 0000000064E8: D3F300D4 0F533566
	v_mfma_f32_16x16x32_fp8_fp8 v[216:219], a[104:105], v[132:133], v[216:219]// 0000000064F0: D3F300D8 0F630968
	v_mfma_f32_16x16x32_fp8_fp8 v[216:219], a[106:107], v[134:135], v[216:219]// 0000000064F8: D3F300D8 0F630D6A
	buffer_load_dwordx4 a[24:27], v41, s[12:15], 0 offen       // 000000006500: E05C1000 80831829
	v_mfma_f32_16x16x32_fp8_fp8 v[220:223], a[104:105], v[152:153], v[220:223]// 000000006508: D3F300DC 0F733168
	v_mfma_f32_16x16x32_fp8_fp8 v[220:223], a[106:107], v[154:155], v[220:223]// 000000006510: D3F300DC 0F73356A
	v_mfma_f32_16x16x32_fp8_fp8 v[224:227], a[108:109], v[132:133], v[224:227]// 000000006518: D3F300E0 0F83096C
	v_mfma_f32_16x16x32_fp8_fp8 v[224:227], a[110:111], v[134:135], v[224:227]// 000000006520: D3F300E0 0F830D6E
	buffer_load_dwordx4 a[28:31], v42, s[12:15], 0 offen       // 000000006528: E05C1000 80831C2A
	s_add_u32 s12, s78, s12                                    // 000000006530: 800C0C4E
	s_addc_u32 s13, 0, s13                                     // 000000006534: 820D0D80
	v_mfma_f32_16x16x32_fp8_fp8 v[228:231], a[108:109], v[152:153], v[228:231]// 000000006538: D3F300E4 0F93316C
	v_mfma_f32_16x16x32_fp8_fp8 v[228:231], a[110:111], v[154:155], v[228:231]// 000000006540: D3F300E4 0F93356E
	s_waitcnt vmcnt(33)                                        // 000000006548: BF8C8F71
	v_mfma_f32_16x16x32_fp8_fp8 v[200:203], a[112:113], v[136:137], v[200:203]// 00000000654C: D3F300C8 0F231170
	v_mfma_f32_16x16x32_fp8_fp8 v[200:203], a[114:115], v[138:139], v[200:203]// 000000006554: D3F300C8 0F231572
	buffer_load_dwordx4 a[32:35], v39, s[12:15], 0 offen       // 00000000655C: E05C1000 80832027
	v_mfma_f32_16x16x32_fp8_fp8 v[204:207], a[112:113], v[156:157], v[204:207]// 000000006564: D3F300CC 0F333970
	v_mfma_f32_16x16x32_fp8_fp8 v[204:207], a[114:115], v[158:159], v[204:207]// 00000000656C: D3F300CC 0F333D72
	v_mfma_f32_16x16x32_fp8_fp8 v[208:211], a[116:117], v[136:137], v[208:211]// 000000006574: D3F300D0 0F431174
	v_mfma_f32_16x16x32_fp8_fp8 v[208:211], a[118:119], v[138:139], v[208:211]// 00000000657C: D3F300D0 0F431576
	buffer_load_dwordx4 a[36:39], v40, s[12:15], 0 offen       // 000000006584: E05C1000 80832428
	v_mfma_f32_16x16x32_fp8_fp8 v[212:215], a[116:117], v[156:157], v[212:215]// 00000000658C: D3F300D4 0F533974
	v_mfma_f32_16x16x32_fp8_fp8 v[212:215], a[118:119], v[158:159], v[212:215]// 000000006594: D3F300D4 0F533D76
	v_mfma_f32_16x16x32_fp8_fp8 v[216:219], a[120:121], v[136:137], v[216:219]// 00000000659C: D3F300D8 0F631178
	v_mfma_f32_16x16x32_fp8_fp8 v[216:219], a[122:123], v[138:139], v[216:219]// 0000000065A4: D3F300D8 0F63157A
	buffer_load_dwordx4 a[40:43], v41, s[12:15], 0 offen       // 0000000065AC: E05C1000 80832829
	v_mfma_f32_16x16x32_fp8_fp8 v[220:223], a[120:121], v[156:157], v[220:223]// 0000000065B4: D3F300DC 0F733978
	v_mfma_f32_16x16x32_fp8_fp8 v[220:223], a[122:123], v[158:159], v[220:223]// 0000000065BC: D3F300DC 0F733D7A
	v_mfma_f32_16x16x32_fp8_fp8 v[224:227], a[124:125], v[136:137], v[224:227]// 0000000065C4: D3F300E0 0F83117C
	v_mfma_f32_16x16x32_fp8_fp8 v[224:227], a[126:127], v[138:139], v[224:227]// 0000000065CC: D3F300E0 0F83157E
	buffer_load_dwordx4 a[44:47], v42, s[12:15], 0 offen       // 0000000065D4: E05C1000 80832C2A
	s_add_u32 s12, s78, s12                                    // 0000000065DC: 800C0C4E
	s_addc_u32 s13, 0, s13                                     // 0000000065E0: 820D0D80
	v_mfma_f32_16x16x32_fp8_fp8 v[228:231], a[124:125], v[156:157], v[228:231]// 0000000065E4: D3F300E4 0F93397C
	v_mfma_f32_16x16x32_fp8_fp8 v[228:231], a[126:127], v[158:159], v[228:231]// 0000000065EC: D3F300E4 0F933D7E
	s_waitcnt vmcnt(33)                                        // 0000000065F4: BF8C8F71
	v_mfma_f32_16x16x32_fp8_fp8 v[200:203], a[128:129], v[140:141], v[200:203]// 0000000065F8: D3F300C8 0F231980
	v_mfma_f32_16x16x32_fp8_fp8 v[200:203], a[130:131], v[142:143], v[200:203]// 000000006600: D3F300C8 0F231D82
	buffer_load_dwordx4 a[48:51], v39, s[12:15], 0 offen       // 000000006608: E05C1000 80833027
	v_mfma_f32_16x16x32_fp8_fp8 v[204:207], a[128:129], v[160:161], v[204:207]// 000000006610: D3F300CC 0F334180
	v_mfma_f32_16x16x32_fp8_fp8 v[204:207], a[130:131], v[162:163], v[204:207]// 000000006618: D3F300CC 0F334582
	v_mfma_f32_16x16x32_fp8_fp8 v[208:211], a[132:133], v[140:141], v[208:211]// 000000006620: D3F300D0 0F431984
	v_mfma_f32_16x16x32_fp8_fp8 v[208:211], a[134:135], v[142:143], v[208:211]// 000000006628: D3F300D0 0F431D86
	buffer_load_dwordx4 a[52:55], v40, s[12:15], 0 offen       // 000000006630: E05C1000 80833428
	v_mfma_f32_16x16x32_fp8_fp8 v[212:215], a[132:133], v[160:161], v[212:215]// 000000006638: D3F300D4 0F534184
	v_mfma_f32_16x16x32_fp8_fp8 v[212:215], a[134:135], v[162:163], v[212:215]// 000000006640: D3F300D4 0F534586
	v_mfma_f32_16x16x32_fp8_fp8 v[216:219], a[136:137], v[140:141], v[216:219]// 000000006648: D3F300D8 0F631988
	v_mfma_f32_16x16x32_fp8_fp8 v[216:219], a[138:139], v[142:143], v[216:219]// 000000006650: D3F300D8 0F631D8A
	buffer_load_dwordx4 a[56:59], v41, s[12:15], 0 offen       // 000000006658: E05C1000 80833829
	v_mfma_f32_16x16x32_fp8_fp8 v[220:223], a[136:137], v[160:161], v[220:223]// 000000006660: D3F300DC 0F734188
	v_mfma_f32_16x16x32_fp8_fp8 v[220:223], a[138:139], v[162:163], v[220:223]// 000000006668: D3F300DC 0F73458A
	v_mfma_f32_16x16x32_fp8_fp8 v[224:227], a[140:141], v[140:141], v[224:227]// 000000006670: D3F300E0 0F83198C
	v_mfma_f32_16x16x32_fp8_fp8 v[224:227], a[142:143], v[142:143], v[224:227]// 000000006678: D3F300E0 0F831D8E
	buffer_load_dwordx4 a[60:63], v42, s[12:15], 0 offen       // 000000006680: E05C1000 80833C2A
	s_add_u32 s12, s78, s12                                    // 000000006688: 800C0C4E
	s_addc_u32 s13, 0, s13                                     // 00000000668C: 820D0D80
	v_mfma_f32_16x16x32_fp8_fp8 v[228:231], a[140:141], v[160:161], v[228:231]// 000000006690: D3F300E4 0F93418C
	v_mfma_f32_16x16x32_fp8_fp8 v[228:231], a[142:143], v[162:163], v[228:231]// 000000006698: D3F300E4 0F93458E
	s_waitcnt vmcnt(32)                                        // 0000000066A0: BF8C8F70
	v_mfma_f32_16x16x32_fp8_fp8 v[200:203], a[144:145], v[144:145], v[200:203]// 0000000066A4: D3F300C8 0F232190
	v_mfma_f32_16x16x32_fp8_fp8 v[200:203], a[146:147], v[146:147], v[200:203]// 0000000066AC: D3F300C8 0F232592
	buffer_load_dwordx4 a[64:67], v39, s[12:15], 0 offen       // 0000000066B4: E05C1000 80834027
	v_mfma_f32_16x16x32_fp8_fp8 v[204:207], a[144:145], v[164:165], v[204:207]// 0000000066BC: D3F300CC 0F334990
	v_mfma_f32_16x16x32_fp8_fp8 v[204:207], a[146:147], v[166:167], v[204:207]// 0000000066C4: D3F300CC 0F334D92
	buffer_load_dword v12, v5, s[16:19], 0 offen               // 0000000066CC: E0501000 80040C05
	v_mfma_f32_16x16x32_fp8_fp8 v[208:211], a[148:149], v[144:145], v[208:211]// 0000000066D4: D3F300D0 0F432194
	v_mfma_f32_16x16x32_fp8_fp8 v[208:211], a[150:151], v[146:147], v[208:211]// 0000000066DC: D3F300D0 0F432596
	buffer_load_dwordx4 a[68:71], v40, s[12:15], 0 offen       // 0000000066E4: E05C1000 80834428
	v_mfma_f32_16x16x32_fp8_fp8 v[212:215], a[148:149], v[164:165], v[212:215]// 0000000066EC: D3F300D4 0F534994
	v_mfma_f32_16x16x32_fp8_fp8 v[212:215], a[150:151], v[166:167], v[212:215]// 0000000066F4: D3F300D4 0F534D96
	v_mfma_f32_16x16x32_fp8_fp8 v[216:219], a[152:153], v[144:145], v[216:219]// 0000000066FC: D3F300D8 0F632198
	v_mfma_f32_16x16x32_fp8_fp8 v[216:219], a[154:155], v[146:147], v[216:219]// 000000006704: D3F300D8 0F63259A
	buffer_load_dwordx4 a[72:75], v41, s[12:15], 0 offen       // 00000000670C: E05C1000 80834829
	v_mfma_f32_16x16x32_fp8_fp8 v[220:223], a[152:153], v[164:165], v[220:223]// 000000006714: D3F300DC 0F734998
	v_mfma_f32_16x16x32_fp8_fp8 v[220:223], a[154:155], v[166:167], v[220:223]// 00000000671C: D3F300DC 0F734D9A
	v_mfma_f32_16x16x32_fp8_fp8 v[224:227], a[156:157], v[144:145], v[224:227]// 000000006724: D3F300E0 0F83219C
	v_mfma_f32_16x16x32_fp8_fp8 v[224:227], a[158:159], v[146:147], v[224:227]// 00000000672C: D3F300E0 0F83259E
	buffer_load_dwordx4 a[76:79], v42, s[12:15], 0 offen       // 000000006734: E05C1000 80834C2A
	v_mfma_f32_16x16x32_fp8_fp8 v[228:231], a[156:157], v[164:165], v[228:231]// 00000000673C: D3F300E4 0F93499C
	v_mfma_f32_16x16x32_fp8_fp8 v[228:231], a[158:159], v[166:167], v[228:231]// 000000006744: D3F300E4 0F934D9E
	s_add_u32 s60, 0x200, s80                                  // 00000000674C: 803C50FF 00000200
	s_cmp_lt_u32 s60, s81                                      // 000000006754: BF0A513C
	s_cselect_b32 s56, s56, 0                                  // 000000006758: 85388038
	s_cselect_b32 s78, s78, 0                                  // 00000000675C: 854E804E
	s_cselect_b32 s79, s79, 0                                  // 000000006760: 854F804F
	s_add_u32 s12, s56, s12                                    // 000000006764: 800C0C38
	s_addc_u32 s13, 0, s13                                     // 000000006768: 820D0D80
	s_add_u32 s16, s79, s16                                    // 00000000676C: 8010104F
	s_addc_u32 s17, 0, s17                                     // 000000006770: 82111180
	v_mul_f32_e32 v200, v24, v200                              // 000000006774: 0B919118
	v_mul_f32_e32 v201, v24, v201                              // 000000006778: 0B939318
	v_mul_f32_e32 v202, v24, v202                              // 00000000677C: 0B959518
	v_mul_f32_e32 v203, v24, v203                              // 000000006780: 0B979718
	v_mul_f32_dpp v200, v13, v200 row_newbcast:0 row_mask:0xf bank_mask:0xf// 000000006784: 0B9190FA FF01500D
	v_mul_f32_dpp v201, v13, v201 row_newbcast:1 row_mask:0xf bank_mask:0xf// 00000000678C: 0B9392FA FF01510D
	v_mul_f32_dpp v202, v13, v202 row_newbcast:2 row_mask:0xf bank_mask:0xf// 000000006794: 0B9594FA FF01520D
	v_mul_f32_dpp v203, v13, v203 row_newbcast:3 row_mask:0xf bank_mask:0xf// 00000000679C: 0B9796FA FF01530D
	v_mul_f32_e32 v200, v20, v200                              // 0000000067A4: 0B919114
	v_mul_f32_e32 v201, v20, v201                              // 0000000067A8: 0B939314
	v_mul_f32_e32 v202, v20, v202                              // 0000000067AC: 0B959514
	v_mul_f32_e32 v203, v20, v203                              // 0000000067B0: 0B979714
	v_mul_f32_e32 v204, v25, v204                              // 0000000067B4: 0B999919
	v_mul_f32_e32 v205, v25, v205                              // 0000000067B8: 0B9B9B19
	v_mul_f32_e32 v206, v25, v206                              // 0000000067BC: 0B9D9D19
	v_mul_f32_e32 v207, v25, v207                              // 0000000067C0: 0B9F9F19
	v_mul_f32_dpp v204, v13, v204 row_newbcast:0 row_mask:0xf bank_mask:0xf// 0000000067C4: 0B9998FA FF01500D
	v_mul_f32_dpp v205, v13, v205 row_newbcast:1 row_mask:0xf bank_mask:0xf// 0000000067CC: 0B9B9AFA FF01510D
	v_mul_f32_dpp v206, v13, v206 row_newbcast:2 row_mask:0xf bank_mask:0xf// 0000000067D4: 0B9D9CFA FF01520D
	v_mul_f32_dpp v207, v13, v207 row_newbcast:3 row_mask:0xf bank_mask:0xf// 0000000067DC: 0B9F9EFA FF01530D
	v_mul_f32_e32 v204, v21, v204                              // 0000000067E4: 0B999915
	v_mul_f32_e32 v205, v21, v205                              // 0000000067E8: 0B9B9B15
	v_mul_f32_e32 v206, v21, v206                              // 0000000067EC: 0B9D9D15
	v_mul_f32_e32 v207, v21, v207                              // 0000000067F0: 0B9F9F15
	v_mul_f32_e32 v208, v24, v208                              // 0000000067F4: 0BA1A118
	v_mul_f32_e32 v209, v24, v209                              // 0000000067F8: 0BA3A318
	v_mul_f32_e32 v210, v24, v210                              // 0000000067FC: 0BA5A518
	v_mul_f32_e32 v211, v24, v211                              // 000000006800: 0BA7A718
	v_mul_f32_dpp v208, v13, v208 row_newbcast:4 row_mask:0xf bank_mask:0xf// 000000006804: 0BA1A0FA FF01540D
	v_mul_f32_dpp v209, v13, v209 row_newbcast:5 row_mask:0xf bank_mask:0xf// 00000000680C: 0BA3A2FA FF01550D
	v_mul_f32_dpp v210, v13, v210 row_newbcast:6 row_mask:0xf bank_mask:0xf// 000000006814: 0BA5A4FA FF01560D
	v_mul_f32_dpp v211, v13, v211 row_newbcast:7 row_mask:0xf bank_mask:0xf// 00000000681C: 0BA7A6FA FF01570D
	v_mul_f32_e32 v208, v20, v208                              // 000000006824: 0BA1A114
	v_mul_f32_e32 v209, v20, v209                              // 000000006828: 0BA3A314
	v_mul_f32_e32 v210, v20, v210                              // 00000000682C: 0BA5A514
	v_mul_f32_e32 v211, v20, v211                              // 000000006830: 0BA7A714
	v_mul_f32_e32 v212, v25, v212                              // 000000006834: 0BA9A919
	v_mul_f32_e32 v213, v25, v213                              // 000000006838: 0BABAB19
	v_mul_f32_e32 v214, v25, v214                              // 00000000683C: 0BADAD19
	v_mul_f32_e32 v215, v25, v215                              // 000000006840: 0BAFAF19
	v_mul_f32_dpp v212, v13, v212 row_newbcast:4 row_mask:0xf bank_mask:0xf// 000000006844: 0BA9A8FA FF01540D
	v_mul_f32_dpp v213, v13, v213 row_newbcast:5 row_mask:0xf bank_mask:0xf// 00000000684C: 0BABAAFA FF01550D
	v_mul_f32_dpp v214, v13, v214 row_newbcast:6 row_mask:0xf bank_mask:0xf// 000000006854: 0BADACFA FF01560D
	v_mul_f32_dpp v215, v13, v215 row_newbcast:7 row_mask:0xf bank_mask:0xf// 00000000685C: 0BAFAEFA FF01570D
	v_mul_f32_e32 v212, v21, v212                              // 000000006864: 0BA9A915
	v_mul_f32_e32 v213, v21, v213                              // 000000006868: 0BABAB15
	v_mul_f32_e32 v214, v21, v214                              // 00000000686C: 0BADAD15
	v_mul_f32_e32 v215, v21, v215                              // 000000006870: 0BAFAF15
	v_mul_f32_e32 v216, v24, v216                              // 000000006874: 0BB1B118
	v_mul_f32_e32 v217, v24, v217                              // 000000006878: 0BB3B318
	v_mul_f32_e32 v218, v24, v218                              // 00000000687C: 0BB5B518
	v_mul_f32_e32 v219, v24, v219                              // 000000006880: 0BB7B718
	v_mul_f32_dpp v216, v13, v216 row_newbcast:8 row_mask:0xf bank_mask:0xf// 000000006884: 0BB1B0FA FF01580D
	v_mul_f32_dpp v217, v13, v217 row_newbcast:9 row_mask:0xf bank_mask:0xf// 00000000688C: 0BB3B2FA FF01590D
	v_mul_f32_dpp v218, v13, v218 row_newbcast:10 row_mask:0xf bank_mask:0xf// 000000006894: 0BB5B4FA FF015A0D
	v_mul_f32_dpp v219, v13, v219 row_newbcast:11 row_mask:0xf bank_mask:0xf// 00000000689C: 0BB7B6FA FF015B0D
	v_mul_f32_e32 v216, v20, v216                              // 0000000068A4: 0BB1B114
	v_mul_f32_e32 v217, v20, v217                              // 0000000068A8: 0BB3B314
	v_mul_f32_e32 v218, v20, v218                              // 0000000068AC: 0BB5B514
	v_mul_f32_e32 v219, v20, v219                              // 0000000068B0: 0BB7B714
	v_mul_f32_e32 v220, v25, v220                              // 0000000068B4: 0BB9B919
	v_mul_f32_e32 v221, v25, v221                              // 0000000068B8: 0BBBBB19
	v_mul_f32_e32 v222, v25, v222                              // 0000000068BC: 0BBDBD19
	v_mul_f32_e32 v223, v25, v223                              // 0000000068C0: 0BBFBF19
	v_mul_f32_dpp v220, v13, v220 row_newbcast:8 row_mask:0xf bank_mask:0xf// 0000000068C4: 0BB9B8FA FF01580D
	v_mul_f32_dpp v221, v13, v221 row_newbcast:9 row_mask:0xf bank_mask:0xf// 0000000068CC: 0BBBBAFA FF01590D
	v_mul_f32_dpp v222, v13, v222 row_newbcast:10 row_mask:0xf bank_mask:0xf// 0000000068D4: 0BBDBCFA FF015A0D
	v_mul_f32_dpp v223, v13, v223 row_newbcast:11 row_mask:0xf bank_mask:0xf// 0000000068DC: 0BBFBEFA FF015B0D
	v_mul_f32_e32 v220, v21, v220                              // 0000000068E4: 0BB9B915
	v_mul_f32_e32 v221, v21, v221                              // 0000000068E8: 0BBBBB15
	v_mul_f32_e32 v222, v21, v222                              // 0000000068EC: 0BBDBD15
	v_mul_f32_e32 v223, v21, v223                              // 0000000068F0: 0BBFBF15
	v_mul_f32_e32 v224, v24, v224                              // 0000000068F4: 0BC1C118
	v_mul_f32_e32 v225, v24, v225                              // 0000000068F8: 0BC3C318
	v_mul_f32_e32 v226, v24, v226                              // 0000000068FC: 0BC5C518
	v_mul_f32_e32 v227, v24, v227                              // 000000006900: 0BC7C718
	v_mul_f32_dpp v224, v13, v224 row_newbcast:12 row_mask:0xf bank_mask:0xf// 000000006904: 0BC1C0FA FF015C0D
	v_mul_f32_dpp v225, v13, v225 row_newbcast:13 row_mask:0xf bank_mask:0xf// 00000000690C: 0BC3C2FA FF015D0D
	v_mul_f32_dpp v226, v13, v226 row_newbcast:14 row_mask:0xf bank_mask:0xf// 000000006914: 0BC5C4FA FF015E0D
	v_mul_f32_dpp v227, v13, v227 row_newbcast:15 row_mask:0xf bank_mask:0xf// 00000000691C: 0BC7C6FA FF015F0D
	v_mul_f32_e32 v224, v20, v224                              // 000000006924: 0BC1C114
	v_mul_f32_e32 v225, v20, v225                              // 000000006928: 0BC3C314
	v_mul_f32_e32 v226, v20, v226                              // 00000000692C: 0BC5C514
	v_mul_f32_e32 v227, v20, v227                              // 000000006930: 0BC7C714
	v_mul_f32_e32 v228, v25, v228                              // 000000006934: 0BC9C919
	v_mul_f32_e32 v229, v25, v229                              // 000000006938: 0BCBCB19
	v_mul_f32_e32 v230, v25, v230                              // 00000000693C: 0BCDCD19
	v_mul_f32_e32 v231, v25, v231                              // 000000006940: 0BCFCF19
	v_mul_f32_dpp v228, v13, v228 row_newbcast:12 row_mask:0xf bank_mask:0xf// 000000006944: 0BC9C8FA FF015C0D
	v_mul_f32_dpp v229, v13, v229 row_newbcast:13 row_mask:0xf bank_mask:0xf// 00000000694C: 0BCBCAFA FF015D0D
	v_mul_f32_dpp v230, v13, v230 row_newbcast:14 row_mask:0xf bank_mask:0xf// 000000006954: 0BCDCCFA FF015E0D
	v_mul_f32_dpp v231, v13, v231 row_newbcast:15 row_mask:0xf bank_mask:0xf// 00000000695C: 0BCFCEFA FF015F0D
	v_mul_f32_e32 v228, v21, v228                              // 000000006964: 0BC9C915
	v_mul_f32_e32 v229, v21, v229                              // 000000006968: 0BCBCB15
	v_mul_f32_e32 v230, v21, v230                              // 00000000696C: 0BCDCD15
	v_mul_f32_e32 v231, v21, v231                              // 000000006970: 0BCFCF15
	v_cmp_u_f32_e64 s[48:49], v200, v200                       // 000000006974: D0480030 000391C8
	v_add3_u32 v43, v200, v46, 1                               // 00000000697C: D1FF002B 02065DC8
	v_cndmask_b32_e64 v50, v43, v45, s[48:49]                  // 000000006984: D1000032 00C25B2B
	v_cmp_u_f32_e64 s[48:49], v201, v201                       // 00000000698C: D0480030 000393C9
	v_add3_u32 v43, v201, v46, 1                               // 000000006994: D1FF002B 02065DC9
	v_cndmask_b32_e64 v51, v43, v45, s[48:49]                  // 00000000699C: D1000033 00C25B2B
	v_perm_b32 v200, v51, v50, s52                             // 0000000069A4: D1ED00C8 00D26533
	v_cmp_u_f32_e64 s[48:49], v202, v202                       // 0000000069AC: D0480030 000395CA
	v_add3_u32 v43, v202, v46, 1                               // 0000000069B4: D1FF002B 02065DCA
	v_cndmask_b32_e64 v50, v43, v45, s[48:49]                  // 0000000069BC: D1000032 00C25B2B
	v_cmp_u_f32_e64 s[48:49], v203, v203                       // 0000000069C4: D0480030 000397CB
	v_add3_u32 v43, v203, v46, 1                               // 0000000069CC: D1FF002B 02065DCB
	v_cndmask_b32_e64 v51, v43, v45, s[48:49]                  // 0000000069D4: D1000033 00C25B2B
	v_perm_b32 v201, v51, v50, s52                             // 0000000069DC: D1ED00C9 00D26533
	v_cmp_u_f32_e64 s[48:49], v204, v204                       // 0000000069E4: D0480030 000399CC
	v_add3_u32 v43, v204, v46, 1                               // 0000000069EC: D1FF002B 02065DCC
	v_cndmask_b32_e64 v50, v43, v45, s[48:49]                  // 0000000069F4: D1000032 00C25B2B
	v_cmp_u_f32_e64 s[48:49], v205, v205                       // 0000000069FC: D0480030 00039BCD
	v_add3_u32 v43, v205, v46, 1                               // 000000006A04: D1FF002B 02065DCD
	v_cndmask_b32_e64 v51, v43, v45, s[48:49]                  // 000000006A0C: D1000033 00C25B2B
	v_perm_b32 v202, v51, v50, s52                             // 000000006A14: D1ED00CA 00D26533
	v_cmp_u_f32_e64 s[48:49], v206, v206                       // 000000006A1C: D0480030 00039DCE
	v_add3_u32 v43, v206, v46, 1                               // 000000006A24: D1FF002B 02065DCE
	v_cndmask_b32_e64 v50, v43, v45, s[48:49]                  // 000000006A2C: D1000032 00C25B2B
	v_cmp_u_f32_e64 s[48:49], v207, v207                       // 000000006A34: D0480030 00039FCF
	v_add3_u32 v43, v207, v46, 1                               // 000000006A3C: D1FF002B 02065DCF
	v_cndmask_b32_e64 v51, v43, v45, s[48:49]                  // 000000006A44: D1000033 00C25B2B
	v_perm_b32 v203, v51, v50, s52                             // 000000006A4C: D1ED00CB 00D26533
	v_cmp_u_f32_e64 s[48:49], v208, v208                       // 000000006A54: D0480030 0003A1D0
	v_add3_u32 v43, v208, v46, 1                               // 000000006A5C: D1FF002B 02065DD0
	v_cndmask_b32_e64 v50, v43, v45, s[48:49]                  // 000000006A64: D1000032 00C25B2B
	v_cmp_u_f32_e64 s[48:49], v209, v209                       // 000000006A6C: D0480030 0003A3D1
	v_add3_u32 v43, v209, v46, 1                               // 000000006A74: D1FF002B 02065DD1
	v_cndmask_b32_e64 v51, v43, v45, s[48:49]                  // 000000006A7C: D1000033 00C25B2B
	v_perm_b32 v204, v51, v50, s52                             // 000000006A84: D1ED00CC 00D26533
	v_cmp_u_f32_e64 s[48:49], v210, v210                       // 000000006A8C: D0480030 0003A5D2
	v_add3_u32 v43, v210, v46, 1                               // 000000006A94: D1FF002B 02065DD2
	v_cndmask_b32_e64 v50, v43, v45, s[48:49]                  // 000000006A9C: D1000032 00C25B2B
	v_cmp_u_f32_e64 s[48:49], v211, v211                       // 000000006AA4: D0480030 0003A7D3
	v_add3_u32 v43, v211, v46, 1                               // 000000006AAC: D1FF002B 02065DD3
	v_cndmask_b32_e64 v51, v43, v45, s[48:49]                  // 000000006AB4: D1000033 00C25B2B
	v_perm_b32 v205, v51, v50, s52                             // 000000006ABC: D1ED00CD 00D26533
	v_cmp_u_f32_e64 s[48:49], v212, v212                       // 000000006AC4: D0480030 0003A9D4
	v_add3_u32 v43, v212, v46, 1                               // 000000006ACC: D1FF002B 02065DD4
	v_cndmask_b32_e64 v50, v43, v45, s[48:49]                  // 000000006AD4: D1000032 00C25B2B
	v_cmp_u_f32_e64 s[48:49], v213, v213                       // 000000006ADC: D0480030 0003ABD5
	v_add3_u32 v43, v213, v46, 1                               // 000000006AE4: D1FF002B 02065DD5
	v_cndmask_b32_e64 v51, v43, v45, s[48:49]                  // 000000006AEC: D1000033 00C25B2B
	v_perm_b32 v206, v51, v50, s52                             // 000000006AF4: D1ED00CE 00D26533
	v_cmp_u_f32_e64 s[48:49], v214, v214                       // 000000006AFC: D0480030 0003ADD6
	v_add3_u32 v43, v214, v46, 1                               // 000000006B04: D1FF002B 02065DD6
	v_cndmask_b32_e64 v50, v43, v45, s[48:49]                  // 000000006B0C: D1000032 00C25B2B
	v_cmp_u_f32_e64 s[48:49], v215, v215                       // 000000006B14: D0480030 0003AFD7
	v_add3_u32 v43, v215, v46, 1                               // 000000006B1C: D1FF002B 02065DD7
	v_cndmask_b32_e64 v51, v43, v45, s[48:49]                  // 000000006B24: D1000033 00C25B2B
	v_perm_b32 v207, v51, v50, s52                             // 000000006B2C: D1ED00CF 00D26533
	v_cmp_u_f32_e64 s[48:49], v216, v216                       // 000000006B34: D0480030 0003B1D8
	v_add3_u32 v43, v216, v46, 1                               // 000000006B3C: D1FF002B 02065DD8
	v_cndmask_b32_e64 v50, v43, v45, s[48:49]                  // 000000006B44: D1000032 00C25B2B
	v_cmp_u_f32_e64 s[48:49], v217, v217                       // 000000006B4C: D0480030 0003B3D9
	v_add3_u32 v43, v217, v46, 1                               // 000000006B54: D1FF002B 02065DD9
	v_cndmask_b32_e64 v51, v43, v45, s[48:49]                  // 000000006B5C: D1000033 00C25B2B
	v_perm_b32 v208, v51, v50, s52                             // 000000006B64: D1ED00D0 00D26533
	v_cmp_u_f32_e64 s[48:49], v218, v218                       // 000000006B6C: D0480030 0003B5DA
	v_add3_u32 v43, v218, v46, 1                               // 000000006B74: D1FF002B 02065DDA
	v_cndmask_b32_e64 v50, v43, v45, s[48:49]                  // 000000006B7C: D1000032 00C25B2B
	v_cmp_u_f32_e64 s[48:49], v219, v219                       // 000000006B84: D0480030 0003B7DB
	v_add3_u32 v43, v219, v46, 1                               // 000000006B8C: D1FF002B 02065DDB
	v_cndmask_b32_e64 v51, v43, v45, s[48:49]                  // 000000006B94: D1000033 00C25B2B
	v_perm_b32 v209, v51, v50, s52                             // 000000006B9C: D1ED00D1 00D26533
	v_cmp_u_f32_e64 s[48:49], v220, v220                       // 000000006BA4: D0480030 0003B9DC
	v_add3_u32 v43, v220, v46, 1                               // 000000006BAC: D1FF002B 02065DDC
	v_cndmask_b32_e64 v50, v43, v45, s[48:49]                  // 000000006BB4: D1000032 00C25B2B
	v_cmp_u_f32_e64 s[48:49], v221, v221                       // 000000006BBC: D0480030 0003BBDD
	v_add3_u32 v43, v221, v46, 1                               // 000000006BC4: D1FF002B 02065DDD
	v_cndmask_b32_e64 v51, v43, v45, s[48:49]                  // 000000006BCC: D1000033 00C25B2B
	v_perm_b32 v210, v51, v50, s52                             // 000000006BD4: D1ED00D2 00D26533
	v_cmp_u_f32_e64 s[48:49], v222, v222                       // 000000006BDC: D0480030 0003BDDE
	v_add3_u32 v43, v222, v46, 1                               // 000000006BE4: D1FF002B 02065DDE
	v_cndmask_b32_e64 v50, v43, v45, s[48:49]                  // 000000006BEC: D1000032 00C25B2B
	v_cmp_u_f32_e64 s[48:49], v223, v223                       // 000000006BF4: D0480030 0003BFDF
	v_add3_u32 v43, v223, v46, 1                               // 000000006BFC: D1FF002B 02065DDF
	v_cndmask_b32_e64 v51, v43, v45, s[48:49]                  // 000000006C04: D1000033 00C25B2B
	v_perm_b32 v211, v51, v50, s52                             // 000000006C0C: D1ED00D3 00D26533
	v_cmp_u_f32_e64 s[48:49], v224, v224                       // 000000006C14: D0480030 0003C1E0
	v_add3_u32 v43, v224, v46, 1                               // 000000006C1C: D1FF002B 02065DE0
	v_cndmask_b32_e64 v50, v43, v45, s[48:49]                  // 000000006C24: D1000032 00C25B2B
	v_cmp_u_f32_e64 s[48:49], v225, v225                       // 000000006C2C: D0480030 0003C3E1
	v_add3_u32 v43, v225, v46, 1                               // 000000006C34: D1FF002B 02065DE1
	v_cndmask_b32_e64 v51, v43, v45, s[48:49]                  // 000000006C3C: D1000033 00C25B2B
	v_perm_b32 v212, v51, v50, s52                             // 000000006C44: D1ED00D4 00D26533
	v_cmp_u_f32_e64 s[48:49], v226, v226                       // 000000006C4C: D0480030 0003C5E2
	v_add3_u32 v43, v226, v46, 1                               // 000000006C54: D1FF002B 02065DE2
	v_cndmask_b32_e64 v50, v43, v45, s[48:49]                  // 000000006C5C: D1000032 00C25B2B
	v_cmp_u_f32_e64 s[48:49], v227, v227                       // 000000006C64: D0480030 0003C7E3
	v_add3_u32 v43, v227, v46, 1                               // 000000006C6C: D1FF002B 02065DE3
	v_cndmask_b32_e64 v51, v43, v45, s[48:49]                  // 000000006C74: D1000033 00C25B2B
	v_perm_b32 v213, v51, v50, s52                             // 000000006C7C: D1ED00D5 00D26533
	v_cmp_u_f32_e64 s[48:49], v228, v228                       // 000000006C84: D0480030 0003C9E4
	v_add3_u32 v43, v228, v46, 1                               // 000000006C8C: D1FF002B 02065DE4
	v_cndmask_b32_e64 v50, v43, v45, s[48:49]                  // 000000006C94: D1000032 00C25B2B
	v_cmp_u_f32_e64 s[48:49], v229, v229                       // 000000006C9C: D0480030 0003CBE5
	v_add3_u32 v43, v229, v46, 1                               // 000000006CA4: D1FF002B 02065DE5
	v_cndmask_b32_e64 v51, v43, v45, s[48:49]                  // 000000006CAC: D1000033 00C25B2B
	v_perm_b32 v214, v51, v50, s52                             // 000000006CB4: D1ED00D6 00D26533
	v_cmp_u_f32_e64 s[48:49], v230, v230                       // 000000006CBC: D0480030 0003CDE6
	v_add3_u32 v43, v230, v46, 1                               // 000000006CC4: D1FF002B 02065DE6
	v_cndmask_b32_e64 v50, v43, v45, s[48:49]                  // 000000006CCC: D1000032 00C25B2B
	v_cmp_u_f32_e64 s[48:49], v231, v231                       // 000000006CD4: D0480030 0003CFE7
	v_add3_u32 v43, v231, v46, 1                               // 000000006CDC: D1FF002B 02065DE7
	v_cndmask_b32_e64 v51, v43, v45, s[48:49]                  // 000000006CE4: D1000033 00C25B2B
	v_perm_b32 v215, v51, v50, s52                             // 000000006CEC: D1ED00D7 00D26533
	ds_write_b64 v3, v[200:201] offset:28928                   // 000000006CF4: D89A7100 0000C803
	ds_write_b64 v3, v[202:203] offset:37632                   // 000000006CFC: D89A9300 0000CA03
	ds_write_b64 v3, v[204:205] offset:31104                   // 000000006D04: D89A7980 0000CC03
	ds_write_b64 v3, v[206:207] offset:39808                   // 000000006D0C: D89A9B80 0000CE03
	ds_write_b64 v3, v[208:209] offset:33280                   // 000000006D14: D89A8200 0000D003
	ds_write_b64 v3, v[210:211] offset:41984                   // 000000006D1C: D89AA400 0000D203
	ds_write_b64 v3, v[212:213] offset:35456                   // 000000006D24: D89A8A80 0000D403
	ds_write_b64 v3, v[214:215] offset:44160                   // 000000006D2C: D89AAC80 0000D603
	s_waitcnt lgkmcnt(0)                                       // 000000006D34: BF8CC07F
	s_barrier                                                  // 000000006D38: BF8A0000
	ds_read_b32 v64, v4 offset:28928                           // 000000006D3C: D86C7100 40000004
	ds_read_b32 v65, v4 offset:33280                           // 000000006D44: D86C8200 41000004
	ds_read_b32 v66, v4 offset:28960                           // 000000006D4C: D86C7120 42000004
	ds_read_b32 v67, v4 offset:33312                           // 000000006D54: D86C8220 43000004
	ds_read_b32 v68, v4 offset:28992                           // 000000006D5C: D86C7140 44000004
	ds_read_b32 v69, v4 offset:33344                           // 000000006D64: D86C8240 45000004
	ds_read_b32 v70, v4 offset:29024                           // 000000006D6C: D86C7160 46000004
	ds_read_b32 v71, v4 offset:33376                           // 000000006D74: D86C8260 47000004
	ds_read_b32 v72, v4 offset:37632                           // 000000006D7C: D86C9300 48000004
	ds_read_b32 v73, v4 offset:41984                           // 000000006D84: D86CA400 49000004
	ds_read_b32 v74, v4 offset:37664                           // 000000006D8C: D86C9320 4A000004
	ds_read_b32 v75, v4 offset:42016                           // 000000006D94: D86CA420 4B000004
	ds_read_b32 v76, v4 offset:37696                           // 000000006D9C: D86C9340 4C000004
	ds_read_b32 v77, v4 offset:42048                           // 000000006DA4: D86CA440 4D000004
	ds_read_b32 v78, v4 offset:37728                           // 000000006DAC: D86C9360 4E000004
	ds_read_b32 v79, v4 offset:42080                           // 000000006DB4: D86CA460 4F000004
	s_waitcnt lgkmcnt(0)                                       // 000000006DBC: BF8CC07F
	s_mov_b64 exec, s[20:21]                                   // 000000006DC0: BEFE0114
	global_atomic_pk_add_bf16 v80, v64, s[8:9]                 // 000000006DC4: DD488000 00084050
	s_mov_b64 exec, s[36:37]                                   // 000000006DCC: BEFE0124
	s_mov_b64 exec, s[20:21]                                   // 000000006DD0: BEFE0114
	global_atomic_pk_add_bf16 v80, v65, s[8:9] offset:256      // 000000006DD4: DD488100 00084150
	s_mov_b64 exec, s[36:37]                                   // 000000006DDC: BEFE0124
	s_mov_b64 exec, s[22:23]                                   // 000000006DE0: BEFE0116
	global_atomic_pk_add_bf16 v82, v66, s[8:9]                 // 000000006DE4: DD488000 00084252
	s_mov_b64 exec, s[36:37]                                   // 000000006DEC: BEFE0124
	s_mov_b64 exec, s[22:23]                                   // 000000006DF0: BEFE0116
	global_atomic_pk_add_bf16 v82, v67, s[8:9] offset:256      // 000000006DF4: DD488100 00084352
	s_mov_b64 exec, s[36:37]                                   // 000000006DFC: BEFE0124
	s_mov_b64 exec, s[24:25]                                   // 000000006E00: BEFE0118
	global_atomic_pk_add_bf16 v84, v68, s[8:9]                 // 000000006E04: DD488000 00084454
	s_mov_b64 exec, s[36:37]                                   // 000000006E0C: BEFE0124
	s_mov_b64 exec, s[24:25]                                   // 000000006E10: BEFE0118
	global_atomic_pk_add_bf16 v84, v69, s[8:9] offset:256      // 000000006E14: DD488100 00084554
	s_mov_b64 exec, s[36:37]                                   // 000000006E1C: BEFE0124
	s_mov_b64 exec, s[26:27]                                   // 000000006E20: BEFE011A
	global_atomic_pk_add_bf16 v86, v70, s[8:9]                 // 000000006E24: DD488000 00084656
	s_mov_b64 exec, s[36:37]                                   // 000000006E2C: BEFE0124
	s_mov_b64 exec, s[26:27]                                   // 000000006E30: BEFE011A
	global_atomic_pk_add_bf16 v86, v71, s[8:9] offset:256      // 000000006E34: DD488100 00084756
	s_mov_b64 exec, s[36:37]                                   // 000000006E3C: BEFE0124
	s_mov_b64 exec, s[28:29]                                   // 000000006E40: BEFE011C
	global_atomic_pk_add_bf16 v88, v72, s[8:9]                 // 000000006E44: DD488000 00084858
	s_mov_b64 exec, s[36:37]                                   // 000000006E4C: BEFE0124
	s_mov_b64 exec, s[28:29]                                   // 000000006E50: BEFE011C
	global_atomic_pk_add_bf16 v88, v73, s[8:9] offset:256      // 000000006E54: DD488100 00084958
	s_mov_b64 exec, s[36:37]                                   // 000000006E5C: BEFE0124
	s_mov_b64 exec, s[30:31]                                   // 000000006E60: BEFE011E
	global_atomic_pk_add_bf16 v90, v74, s[8:9]                 // 000000006E64: DD488000 00084A5A
	s_mov_b64 exec, s[36:37]                                   // 000000006E6C: BEFE0124
	s_mov_b64 exec, s[30:31]                                   // 000000006E70: BEFE011E
	global_atomic_pk_add_bf16 v90, v75, s[8:9] offset:256      // 000000006E74: DD488100 00084B5A
	s_mov_b64 exec, s[36:37]                                   // 000000006E7C: BEFE0124
	s_mov_b64 exec, s[32:33]                                   // 000000006E80: BEFE0120
	global_atomic_pk_add_bf16 v92, v76, s[8:9]                 // 000000006E84: DD488000 00084C5C
	s_mov_b64 exec, s[36:37]                                   // 000000006E8C: BEFE0124
	s_mov_b64 exec, s[32:33]                                   // 000000006E90: BEFE0120
	global_atomic_pk_add_bf16 v92, v77, s[8:9] offset:256      // 000000006E94: DD488100 00084D5C
	s_mov_b64 exec, s[36:37]                                   // 000000006E9C: BEFE0124
	s_mov_b64 exec, s[34:35]                                   // 000000006EA0: BEFE0122
	global_atomic_pk_add_bf16 v94, v78, s[8:9]                 // 000000006EA4: DD488000 00084E5E
	s_mov_b64 exec, s[36:37]                                   // 000000006EAC: BEFE0124
	s_mov_b64 exec, s[34:35]                                   // 000000006EB0: BEFE0122
	global_atomic_pk_add_bf16 v94, v79, s[8:9] offset:256      // 000000006EB4: DD488100 00084F5E
	s_mov_b64 exec, s[36:37]                                   // 000000006EBC: BEFE0124
	s_add_u32 s8, s59, s8                                      // 000000006EC0: 8008083B
	s_addc_u32 s9, 0, s9                                       // 000000006EC4: 82090980
	s_addk_i32 s80, 0x100                                      // 000000006EC8: B7500100
	s_cmp_lt_i32 s80, s81                                      // 000000006ECC: BF045150
	s_cbranch_scc0 label_1036                                  // 000000006ED0: BF840001
	s_branch label_0AC1                                        // 000000006ED4: BF82FA8B

0000000000006ed8 <label_1036>:
	s_nop 0                                                    // 000000006ED8: BF800000
	s_nop 0                                                    // 000000006EDC: BF800000
	s_branch label_1DC4                                        // 000000006EE0: BF820D8B

0000000000006ee4 <label_1039>:
	s_waitcnt vmcnt(12) lgkmcnt(0)                             // 000000006EE4: BF8C007C
	s_barrier                                                  // 000000006EE8: BF8A0000
	v_mfma_f32_16x16x32_fp8_fp8 v[128:131], a[0:1], v[168:169], v[128:131]// 000000006EEC: D3F30080 0E035100
	buffer_load_dwordx4 a[80:83], v34, s[92:95], 0 offen       // 000000006EF4: E05C1000 80975022
	v_mfma_f32_16x16x32_fp8_fp8 v[128:131], a[2:3], v[170:171], v[128:131]// 000000006EFC: D3F30080 0E035502
	v_mfma_f32_16x16x32_fp8_fp8 v[128:131], a[4:5], v[172:173], v[128:131]// 000000006F04: D3F30080 0E035904
	buffer_load_dword v26, s[20:23], 0 offen lds               // 000000006F0C: E0511000 8005001A
	s_add_u32 m0, 0x100, s51                                   // 000000006F14: 807C33FF 00000100
	v_mfma_f32_16x16x32_fp8_fp8 v[128:131], a[6:7], v[174:175], v[128:131]// 000000006F1C: D3F30080 0E035D06
	v_mfma_f32_16x16x32_fp8_fp8 v[128:131], a[8:9], v[176:177], v[128:131]// 000000006F24: D3F30080 0E036108
	buffer_load_dwordx4 a[84:87], v34, s[92:95], 0 offen offset:1024// 000000006F2C: E05C1400 80975422
	v_mfma_f32_16x16x32_fp8_fp8 v[128:131], a[10:11], v[178:179], v[128:131]// 000000006F34: D3F30080 0E03650A
	v_mfma_f32_16x16x32_fp8_fp8 v[128:131], a[12:13], v[180:181], v[128:131]// 000000006F3C: D3F30080 0E03690C
	buffer_load_dword v27, s[20:23], 0 offen lds               // 000000006F44: E0511000 8005001B
	s_add_u32 m0, 0x200, s51                                   // 000000006F4C: 807C33FF 00000200
	v_mfma_f32_16x16x32_fp8_fp8 v[128:131], a[14:15], v[182:183], v[128:131]// 000000006F54: D3F30080 0E036D0E
	v_mfma_f32_16x16x32_fp8_fp8 v[132:135], a[0:1], v[184:185], v[132:135]// 000000006F5C: D3F30084 0E137100
	buffer_load_dwordx4 a[88:91], v34, s[92:95], 0 offen offset:2048// 000000006F64: E05C1800 80975822
	v_mfma_f32_16x16x32_fp8_fp8 v[132:135], a[2:3], v[186:187], v[132:135]// 000000006F6C: D3F30084 0E137502
	v_mfma_f32_16x16x32_fp8_fp8 v[132:135], a[4:5], v[188:189], v[132:135]// 000000006F74: D3F30084 0E137904
	buffer_load_dword v28, s[20:23], 0 offen lds               // 000000006F7C: E0511000 8005001C
	s_add_u32 m0, 0x300, s51                                   // 000000006F84: 807C33FF 00000300
	v_mfma_f32_16x16x32_fp8_fp8 v[132:135], a[6:7], v[190:191], v[132:135]// 000000006F8C: D3F30084 0E137D06
	v_mfma_f32_16x16x32_fp8_fp8 v[132:135], a[8:9], v[192:193], v[132:135]// 000000006F94: D3F30084 0E138108
	buffer_load_dwordx4 a[92:95], v34, s[92:95], 0 offen offset:3072// 000000006F9C: E05C1C00 80975C22
	v_mfma_f32_16x16x32_fp8_fp8 v[132:135], a[10:11], v[194:195], v[132:135]// 000000006FA4: D3F30084 0E13850A
	v_mfma_f32_16x16x32_fp8_fp8 v[132:135], a[12:13], v[196:197], v[132:135]// 000000006FAC: D3F30084 0E13890C
	buffer_load_dword v29, s[20:23], 0 offen lds               // 000000006FB4: E0511000 8005001D
	s_add_u32 m0, 0x400, s51                                   // 000000006FBC: 807C33FF 00000400
	v_mfma_f32_16x16x32_fp8_fp8 v[132:135], a[14:15], v[198:199], v[132:135]// 000000006FC4: D3F30084 0E138D0E
	v_mfma_f32_16x16x32_fp8_fp8 v[136:139], a[16:17], v[168:169], v[136:139]// 000000006FCC: D3F30088 0E235110
	buffer_load_dwordx4 a[96:99], v35, s[92:95], 0 offen       // 000000006FD4: E05C1000 80976023
	v_mfma_f32_16x16x32_fp8_fp8 v[136:139], a[18:19], v[170:171], v[136:139]// 000000006FDC: D3F30088 0E235512
	v_mfma_f32_16x16x32_fp8_fp8 v[136:139], a[20:21], v[172:173], v[136:139]// 000000006FE4: D3F30088 0E235914
	buffer_load_dword v30, s[20:23], 0 offen lds               // 000000006FEC: E0511000 8005001E
	s_add_u32 m0, 0x500, s51                                   // 000000006FF4: 807C33FF 00000500
	v_mfma_f32_16x16x32_fp8_fp8 v[136:139], a[22:23], v[174:175], v[136:139]// 000000006FFC: D3F30088 0E235D16
	v_mfma_f32_16x16x32_fp8_fp8 v[136:139], a[24:25], v[176:177], v[136:139]// 000000007004: D3F30088 0E236118
	buffer_load_dwordx4 a[100:103], v35, s[92:95], 0 offen offset:1024// 00000000700C: E05C1400 80976423
	v_mfma_f32_16x16x32_fp8_fp8 v[136:139], a[26:27], v[178:179], v[136:139]// 000000007014: D3F30088 0E23651A
	v_mfma_f32_16x16x32_fp8_fp8 v[136:139], a[28:29], v[180:181], v[136:139]// 00000000701C: D3F30088 0E23691C
	buffer_load_dword v31, s[20:23], 0 offen lds               // 000000007024: E0511000 8005001F
	s_add_u32 m0, 0x600, s51                                   // 00000000702C: 807C33FF 00000600
	v_mfma_f32_16x16x32_fp8_fp8 v[136:139], a[30:31], v[182:183], v[136:139]// 000000007034: D3F30088 0E236D1E
	v_mfma_f32_16x16x32_fp8_fp8 v[140:143], a[16:17], v[184:185], v[140:143]// 00000000703C: D3F3008C 0E337110
	buffer_load_dwordx4 a[104:107], v35, s[92:95], 0 offen offset:2048// 000000007044: E05C1800 80976823
	v_mfma_f32_16x16x32_fp8_fp8 v[140:143], a[18:19], v[186:187], v[140:143]// 00000000704C: D3F3008C 0E337512
	v_mfma_f32_16x16x32_fp8_fp8 v[140:143], a[20:21], v[188:189], v[140:143]// 000000007054: D3F3008C 0E337914
	buffer_load_dword v32, s[20:23], 0 offen lds               // 00000000705C: E0511000 80050020
	s_add_u32 m0, 0x700, s51                                   // 000000007064: 807C33FF 00000700
	v_mfma_f32_16x16x32_fp8_fp8 v[140:143], a[22:23], v[190:191], v[140:143]// 00000000706C: D3F3008C 0E337D16
	v_mfma_f32_16x16x32_fp8_fp8 v[140:143], a[24:25], v[192:193], v[140:143]// 000000007074: D3F3008C 0E338118
	buffer_load_dwordx4 a[108:111], v35, s[92:95], 0 offen offset:3072// 00000000707C: E05C1C00 80976C23
	v_mfma_f32_16x16x32_fp8_fp8 v[140:143], a[26:27], v[194:195], v[140:143]// 000000007084: D3F3008C 0E33851A
	v_mfma_f32_16x16x32_fp8_fp8 v[140:143], a[28:29], v[196:197], v[140:143]// 00000000708C: D3F3008C 0E33891C
	buffer_load_dword v33, s[20:23], 0 offen lds               // 000000007094: E0511000 80050021
	s_add_u32 m0, 0, s50                                       // 00000000709C: 807C3280
	v_mfma_f32_16x16x32_fp8_fp8 v[140:143], a[30:31], v[198:199], v[140:143]// 0000000070A0: D3F3008C 0E338D1E
	s_waitcnt vmcnt(24)                                        // 0000000070A8: BF8C4F78
	v_mfma_f32_16x16x32_fp8_fp8 v[144:147], a[32:33], v[168:169], v[144:147]// 0000000070AC: D3F30090 0E435120
	buffer_load_dwordx4 a[112:115], v36, s[92:95], 0 offen     // 0000000070B4: E05C1000 80977024
	v_mfma_f32_16x16x32_fp8_fp8 v[144:147], a[34:35], v[170:171], v[144:147]// 0000000070BC: D3F30090 0E435522
	v_mfma_f32_16x16x32_fp8_fp8 v[144:147], a[36:37], v[172:173], v[144:147]// 0000000070C4: D3F30090 0E435924
	v_mfma_f32_16x16x32_fp8_fp8 v[144:147], a[38:39], v[174:175], v[144:147]// 0000000070CC: D3F30090 0E435D26
	v_mfma_f32_16x16x32_fp8_fp8 v[144:147], a[40:41], v[176:177], v[144:147]// 0000000070D4: D3F30090 0E436128
	buffer_load_dwordx4 a[116:119], v36, s[92:95], 0 offen offset:1024// 0000000070DC: E05C1400 80977424
	v_mfma_f32_16x16x32_fp8_fp8 v[144:147], a[42:43], v[178:179], v[144:147]// 0000000070E4: D3F30090 0E43652A
	v_mfma_f32_16x16x32_fp8_fp8 v[144:147], a[44:45], v[180:181], v[144:147]// 0000000070EC: D3F30090 0E43692C
	v_mfma_f32_16x16x32_fp8_fp8 v[144:147], a[46:47], v[182:183], v[144:147]// 0000000070F4: D3F30090 0E436D2E
	v_mfma_f32_16x16x32_fp8_fp8 v[148:151], a[32:33], v[184:185], v[148:151]// 0000000070FC: D3F30094 0E537120
	buffer_load_dwordx4 a[120:123], v36, s[92:95], 0 offen offset:2048// 000000007104: E05C1800 80977824
	v_mfma_f32_16x16x32_fp8_fp8 v[148:151], a[34:35], v[186:187], v[148:151]// 00000000710C: D3F30094 0E537522
	v_mfma_f32_16x16x32_fp8_fp8 v[148:151], a[36:37], v[188:189], v[148:151]// 000000007114: D3F30094 0E537924
	v_mfma_f32_16x16x32_fp8_fp8 v[148:151], a[38:39], v[190:191], v[148:151]// 00000000711C: D3F30094 0E537D26
	v_mfma_f32_16x16x32_fp8_fp8 v[148:151], a[40:41], v[192:193], v[148:151]// 000000007124: D3F30094 0E538128
	buffer_load_dwordx4 a[124:127], v36, s[92:95], 0 offen offset:3072// 00000000712C: E05C1C00 80977C24
	v_mfma_f32_16x16x32_fp8_fp8 v[148:151], a[42:43], v[194:195], v[148:151]// 000000007134: D3F30094 0E53852A
	v_mfma_f32_16x16x32_fp8_fp8 v[148:151], a[44:45], v[196:197], v[148:151]// 00000000713C: D3F30094 0E53892C
	v_mfma_f32_16x16x32_fp8_fp8 v[148:151], a[46:47], v[198:199], v[148:151]// 000000007144: D3F30094 0E538D2E
	s_waitcnt vmcnt(24)                                        // 00000000714C: BF8C4F78
	v_mfma_f32_16x16x32_fp8_fp8 v[152:155], a[48:49], v[168:169], v[152:155]// 000000007150: D3F30098 0E635130
	buffer_load_dwordx4 a[128:131], v37, s[92:95], 0 offen     // 000000007158: E05C1000 80978025
	v_mfma_f32_16x16x32_fp8_fp8 v[152:155], a[50:51], v[170:171], v[152:155]// 000000007160: D3F30098 0E635532
	v_mfma_f32_16x16x32_fp8_fp8 v[152:155], a[52:53], v[172:173], v[152:155]// 000000007168: D3F30098 0E635934
	v_mfma_f32_16x16x32_fp8_fp8 v[152:155], a[54:55], v[174:175], v[152:155]// 000000007170: D3F30098 0E635D36
	v_mfma_f32_16x16x32_fp8_fp8 v[152:155], a[56:57], v[176:177], v[152:155]// 000000007178: D3F30098 0E636138
	buffer_load_dwordx4 a[132:135], v37, s[92:95], 0 offen offset:1024// 000000007180: E05C1400 80978425
	v_mfma_f32_16x16x32_fp8_fp8 v[152:155], a[58:59], v[178:179], v[152:155]// 000000007188: D3F30098 0E63653A
	v_mfma_f32_16x16x32_fp8_fp8 v[152:155], a[60:61], v[180:181], v[152:155]// 000000007190: D3F30098 0E63693C
	v_mfma_f32_16x16x32_fp8_fp8 v[152:155], a[62:63], v[182:183], v[152:155]// 000000007198: D3F30098 0E636D3E
	v_mfma_f32_16x16x32_fp8_fp8 v[156:159], a[48:49], v[184:185], v[156:159]// 0000000071A0: D3F3009C 0E737130
	buffer_load_dwordx4 a[136:139], v37, s[92:95], 0 offen offset:2048// 0000000071A8: E05C1800 80978825
	v_mfma_f32_16x16x32_fp8_fp8 v[156:159], a[50:51], v[186:187], v[156:159]// 0000000071B0: D3F3009C 0E737532
	v_mfma_f32_16x16x32_fp8_fp8 v[156:159], a[52:53], v[188:189], v[156:159]// 0000000071B8: D3F3009C 0E737934
	v_mfma_f32_16x16x32_fp8_fp8 v[156:159], a[54:55], v[190:191], v[156:159]// 0000000071C0: D3F3009C 0E737D36
	v_mfma_f32_16x16x32_fp8_fp8 v[156:159], a[56:57], v[192:193], v[156:159]// 0000000071C8: D3F3009C 0E738138
	buffer_load_dwordx4 a[140:143], v37, s[92:95], 0 offen offset:3072// 0000000071D0: E05C1C00 80978C25
	v_mfma_f32_16x16x32_fp8_fp8 v[156:159], a[58:59], v[194:195], v[156:159]// 0000000071D8: D3F3009C 0E73853A
	v_mfma_f32_16x16x32_fp8_fp8 v[156:159], a[60:61], v[196:197], v[156:159]// 0000000071E0: D3F3009C 0E73893C
	v_mfma_f32_16x16x32_fp8_fp8 v[156:159], a[62:63], v[198:199], v[156:159]// 0000000071E8: D3F3009C 0E738D3E
	s_waitcnt vmcnt(24)                                        // 0000000071F0: BF8C4F78
	v_mfma_f32_16x16x32_fp8_fp8 v[160:163], a[64:65], v[168:169], v[160:163]// 0000000071F4: D3F300A0 0E835140
	buffer_load_dwordx4 a[144:147], v38, s[92:95], 0 offen     // 0000000071FC: E05C1000 80979026
	v_mfma_f32_16x16x32_fp8_fp8 v[160:163], a[66:67], v[170:171], v[160:163]// 000000007204: D3F300A0 0E835542
	v_mfma_f32_16x16x32_fp8_fp8 v[160:163], a[68:69], v[172:173], v[160:163]// 00000000720C: D3F300A0 0E835944
	v_mfma_f32_16x16x32_fp8_fp8 v[160:163], a[70:71], v[174:175], v[160:163]// 000000007214: D3F300A0 0E835D46
	v_mfma_f32_16x16x32_fp8_fp8 v[160:163], a[72:73], v[176:177], v[160:163]// 00000000721C: D3F300A0 0E836148
	buffer_load_dwordx4 a[148:151], v38, s[92:95], 0 offen offset:1024// 000000007224: E05C1400 80979426
	v_mfma_f32_16x16x32_fp8_fp8 v[160:163], a[74:75], v[178:179], v[160:163]// 00000000722C: D3F300A0 0E83654A
	v_mfma_f32_16x16x32_fp8_fp8 v[160:163], a[76:77], v[180:181], v[160:163]// 000000007234: D3F300A0 0E83694C
	v_mfma_f32_16x16x32_fp8_fp8 v[160:163], a[78:79], v[182:183], v[160:163]// 00000000723C: D3F300A0 0E836D4E
	v_mfma_f32_16x16x32_fp8_fp8 v[164:167], a[64:65], v[184:185], v[164:167]// 000000007244: D3F300A4 0E937140
	buffer_load_dwordx4 a[152:155], v38, s[92:95], 0 offen offset:2048// 00000000724C: E05C1800 80979826
	v_mfma_f32_16x16x32_fp8_fp8 v[164:167], a[66:67], v[186:187], v[164:167]// 000000007254: D3F300A4 0E937542
	v_mfma_f32_16x16x32_fp8_fp8 v[164:167], a[68:69], v[188:189], v[164:167]// 00000000725C: D3F300A4 0E937944
	v_mfma_f32_16x16x32_fp8_fp8 v[164:167], a[70:71], v[190:191], v[164:167]// 000000007264: D3F300A4 0E937D46
	v_mfma_f32_16x16x32_fp8_fp8 v[164:167], a[72:73], v[192:193], v[164:167]// 00000000726C: D3F300A4 0E938148
	buffer_load_dwordx4 a[156:159], v38, s[92:95], 0 offen offset:3072// 000000007274: E05C1C00 80979C26
	v_mfma_f32_16x16x32_fp8_fp8 v[164:167], a[74:75], v[194:195], v[164:167]// 00000000727C: D3F300A4 0E93854A
	v_mfma_f32_16x16x32_fp8_fp8 v[164:167], a[76:77], v[196:197], v[164:167]// 000000007284: D3F300A4 0E93894C
	v_mfma_f32_16x16x32_fp8_fp8 v[164:167], a[78:79], v[198:199], v[164:167]// 00000000728C: D3F300A4 0E938D4E
	s_waitcnt vmcnt(12)                                        // 000000007294: BF8C0F7C
	s_barrier                                                  // 000000007298: BF8A0000
	v_mfma_f32_16x16x32_fp8_fp8 v[64:67], a[80:81], v[168:169], v[64:67]// 00000000729C: D3F30040 0D035150
	buffer_load_dwordx4 a[0:3], v34, s[24:27], 0 offen         // 0000000072A4: E05C1000 80860022
	v_mfma_f32_16x16x32_fp8_fp8 v[64:67], a[82:83], v[170:171], v[64:67]// 0000000072AC: D3F30040 0D035552
	v_mfma_f32_16x16x32_fp8_fp8 v[64:67], a[84:85], v[172:173], v[64:67]// 0000000072B4: D3F30040 0D035954
	v_mfma_f32_16x16x32_fp8_fp8 v[64:67], a[86:87], v[174:175], v[64:67]// 0000000072BC: D3F30040 0D035D56
	v_mfma_f32_16x16x32_fp8_fp8 v[64:67], a[88:89], v[176:177], v[64:67]// 0000000072C4: D3F30040 0D036158
	buffer_load_dwordx4 a[4:7], v34, s[24:27], 0 offen offset:1024// 0000000072CC: E05C1400 80860422
	v_mfma_f32_16x16x32_fp8_fp8 v[64:67], a[90:91], v[178:179], v[64:67]// 0000000072D4: D3F30040 0D03655A
	v_mfma_f32_16x16x32_fp8_fp8 v[64:67], a[92:93], v[180:181], v[64:67]// 0000000072DC: D3F30040 0D03695C
	v_mfma_f32_16x16x32_fp8_fp8 v[64:67], a[94:95], v[182:183], v[64:67]// 0000000072E4: D3F30040 0D036D5E
	v_mfma_f32_16x16x32_fp8_fp8 v[68:71], a[80:81], v[184:185], v[68:71]// 0000000072EC: D3F30044 0D137150
	buffer_load_dwordx4 a[8:11], v34, s[24:27], 0 offen offset:2048// 0000000072F4: E05C1800 80860822
	v_mfma_f32_16x16x32_fp8_fp8 v[68:71], a[82:83], v[186:187], v[68:71]// 0000000072FC: D3F30044 0D137552
	v_mfma_f32_16x16x32_fp8_fp8 v[68:71], a[84:85], v[188:189], v[68:71]// 000000007304: D3F30044 0D137954
	v_mfma_f32_16x16x32_fp8_fp8 v[68:71], a[86:87], v[190:191], v[68:71]// 00000000730C: D3F30044 0D137D56
	v_mfma_f32_16x16x32_fp8_fp8 v[68:71], a[88:89], v[192:193], v[68:71]// 000000007314: D3F30044 0D138158
	buffer_load_dwordx4 a[12:15], v34, s[24:27], 0 offen offset:3072// 00000000731C: E05C1C00 80860C22
	v_mfma_f32_16x16x32_fp8_fp8 v[68:71], a[90:91], v[194:195], v[68:71]// 000000007324: D3F30044 0D13855A
	v_mfma_f32_16x16x32_fp8_fp8 v[68:71], a[92:93], v[196:197], v[68:71]// 00000000732C: D3F30044 0D13895C
	v_mfma_f32_16x16x32_fp8_fp8 v[68:71], a[94:95], v[198:199], v[68:71]// 000000007334: D3F30044 0D138D5E
	v_mfma_f32_16x16x32_fp8_fp8 v[72:75], a[96:97], v[168:169], v[72:75]// 00000000733C: D3F30048 0D235160
	buffer_load_dwordx4 a[16:19], v35, s[24:27], 0 offen       // 000000007344: E05C1000 80861023
	v_mfma_f32_16x16x32_fp8_fp8 v[72:75], a[98:99], v[170:171], v[72:75]// 00000000734C: D3F30048 0D235562
	v_mfma_f32_16x16x32_fp8_fp8 v[72:75], a[100:101], v[172:173], v[72:75]// 000000007354: D3F30048 0D235964
	v_mfma_f32_16x16x32_fp8_fp8 v[72:75], a[102:103], v[174:175], v[72:75]// 00000000735C: D3F30048 0D235D66
	v_mfma_f32_16x16x32_fp8_fp8 v[72:75], a[104:105], v[176:177], v[72:75]// 000000007364: D3F30048 0D236168
	buffer_load_dwordx4 a[20:23], v35, s[24:27], 0 offen offset:1024// 00000000736C: E05C1400 80861423
	v_mfma_f32_16x16x32_fp8_fp8 v[72:75], a[106:107], v[178:179], v[72:75]// 000000007374: D3F30048 0D23656A
	v_mfma_f32_16x16x32_fp8_fp8 v[72:75], a[108:109], v[180:181], v[72:75]// 00000000737C: D3F30048 0D23696C
	v_mfma_f32_16x16x32_fp8_fp8 v[72:75], a[110:111], v[182:183], v[72:75]// 000000007384: D3F30048 0D236D6E
	v_mfma_f32_16x16x32_fp8_fp8 v[76:79], a[96:97], v[184:185], v[76:79]// 00000000738C: D3F3004C 0D337160
	buffer_load_dwordx4 a[24:27], v35, s[24:27], 0 offen offset:2048// 000000007394: E05C1800 80861823
	v_mfma_f32_16x16x32_fp8_fp8 v[76:79], a[98:99], v[186:187], v[76:79]// 00000000739C: D3F3004C 0D337562
	v_mfma_f32_16x16x32_fp8_fp8 v[76:79], a[100:101], v[188:189], v[76:79]// 0000000073A4: D3F3004C 0D337964
	v_mfma_f32_16x16x32_fp8_fp8 v[76:79], a[102:103], v[190:191], v[76:79]// 0000000073AC: D3F3004C 0D337D66
	v_mfma_f32_16x16x32_fp8_fp8 v[76:79], a[104:105], v[192:193], v[76:79]// 0000000073B4: D3F3004C 0D338168
	buffer_load_dwordx4 a[28:31], v35, s[24:27], 0 offen offset:3072// 0000000073BC: E05C1C00 80861C23
	v_mfma_f32_16x16x32_fp8_fp8 v[76:79], a[106:107], v[194:195], v[76:79]// 0000000073C4: D3F3004C 0D33856A
	v_mfma_f32_16x16x32_fp8_fp8 v[76:79], a[108:109], v[196:197], v[76:79]// 0000000073CC: D3F3004C 0D33896C
	v_mfma_f32_16x16x32_fp8_fp8 v[76:79], a[110:111], v[198:199], v[76:79]// 0000000073D4: D3F3004C 0D338D6E
	s_waitcnt vmcnt(16)                                        // 0000000073DC: BF8C4F70
	v_mfma_f32_16x16x32_fp8_fp8 v[80:83], a[112:113], v[168:169], v[80:83]// 0000000073E0: D3F30050 0D435170
	buffer_load_dwordx4 a[32:35], v36, s[24:27], 0 offen       // 0000000073E8: E05C1000 80862024
	v_mfma_f32_16x16x32_fp8_fp8 v[80:83], a[114:115], v[170:171], v[80:83]// 0000000073F0: D3F30050 0D435572
	v_mfma_f32_16x16x32_fp8_fp8 v[80:83], a[116:117], v[172:173], v[80:83]// 0000000073F8: D3F30050 0D435974
	ds_read_b128 v[200:203], v2 offset:8320                    // 000000007400: D9FE2080 C8000002
	v_mfma_f32_16x16x32_fp8_fp8 v[80:83], a[118:119], v[174:175], v[80:83]// 000000007408: D3F30050 0D435D76
	v_mfma_f32_16x16x32_fp8_fp8 v[80:83], a[120:121], v[176:177], v[80:83]// 000000007410: D3F30050 0D436178
	buffer_load_dwordx4 a[36:39], v36, s[24:27], 0 offen offset:1024// 000000007418: E05C1400 80862424
	v_mfma_f32_16x16x32_fp8_fp8 v[80:83], a[122:123], v[178:179], v[80:83]// 000000007420: D3F30050 0D43657A
	v_mfma_f32_16x16x32_fp8_fp8 v[80:83], a[124:125], v[180:181], v[80:83]// 000000007428: D3F30050 0D43697C
	ds_read_b128 v[204:207], v2 offset:8384                    // 000000007430: D9FE20C0 CC000002
	v_mfma_f32_16x16x32_fp8_fp8 v[80:83], a[126:127], v[182:183], v[80:83]// 000000007438: D3F30050 0D436D7E
	v_mfma_f32_16x16x32_fp8_fp8 v[84:87], a[112:113], v[184:185], v[84:87]// 000000007440: D3F30054 0D537170
	buffer_load_dwordx4 a[40:43], v36, s[24:27], 0 offen offset:2048// 000000007448: E05C1800 80862824
	v_mfma_f32_16x16x32_fp8_fp8 v[84:87], a[114:115], v[186:187], v[84:87]// 000000007450: D3F30054 0D537572
	v_mfma_f32_16x16x32_fp8_fp8 v[84:87], a[116:117], v[188:189], v[84:87]// 000000007458: D3F30054 0D537974
	ds_read_b128 v[208:211], v2 offset:8448                    // 000000007460: D9FE2100 D0000002
	v_mfma_f32_16x16x32_fp8_fp8 v[84:87], a[118:119], v[190:191], v[84:87]// 000000007468: D3F30054 0D537D76
	v_mfma_f32_16x16x32_fp8_fp8 v[84:87], a[120:121], v[192:193], v[84:87]// 000000007470: D3F30054 0D538178
	buffer_load_dwordx4 a[44:47], v36, s[24:27], 0 offen offset:3072// 000000007478: E05C1C00 80862C24
	v_mfma_f32_16x16x32_fp8_fp8 v[84:87], a[122:123], v[194:195], v[84:87]// 000000007480: D3F30054 0D53857A
	v_mfma_f32_16x16x32_fp8_fp8 v[84:87], a[124:125], v[196:197], v[84:87]// 000000007488: D3F30054 0D53897C
	ds_read_b128 v[212:215], v2 offset:8512                    // 000000007490: D9FE2140 D4000002
	v_mfma_f32_16x16x32_fp8_fp8 v[84:87], a[126:127], v[198:199], v[84:87]// 000000007498: D3F30054 0D538D7E
	s_waitcnt vmcnt(16)                                        // 0000000074A0: BF8C4F70
	v_mfma_f32_16x16x32_fp8_fp8 v[88:91], a[128:129], v[168:169], v[88:91]// 0000000074A4: D3F30058 0D635180
	buffer_load_dwordx4 a[48:51], v37, s[24:27], 0 offen       // 0000000074AC: E05C1000 80863025
	v_mfma_f32_16x16x32_fp8_fp8 v[88:91], a[130:131], v[170:171], v[88:91]// 0000000074B4: D3F30058 0D635582
	v_mfma_f32_16x16x32_fp8_fp8 v[88:91], a[132:133], v[172:173], v[88:91]// 0000000074BC: D3F30058 0D635984
	ds_read_b128 v[216:219], v2 offset:9344                    // 0000000074C4: D9FE2480 D8000002
	v_mfma_f32_16x16x32_fp8_fp8 v[88:91], a[134:135], v[174:175], v[88:91]// 0000000074CC: D3F30058 0D635D86
	v_mfma_f32_16x16x32_fp8_fp8 v[88:91], a[136:137], v[176:177], v[88:91]// 0000000074D4: D3F30058 0D636188
	buffer_load_dwordx4 a[52:55], v37, s[24:27], 0 offen offset:1024// 0000000074DC: E05C1400 80863425
	v_mfma_f32_16x16x32_fp8_fp8 v[88:91], a[138:139], v[178:179], v[88:91]// 0000000074E4: D3F30058 0D63658A
	v_mfma_f32_16x16x32_fp8_fp8 v[88:91], a[140:141], v[180:181], v[88:91]// 0000000074EC: D3F30058 0D63698C
	ds_read_b128 v[220:223], v2 offset:9408                    // 0000000074F4: D9FE24C0 DC000002
	v_mfma_f32_16x16x32_fp8_fp8 v[88:91], a[142:143], v[182:183], v[88:91]// 0000000074FC: D3F30058 0D636D8E
	v_mfma_f32_16x16x32_fp8_fp8 v[92:95], a[128:129], v[184:185], v[92:95]// 000000007504: D3F3005C 0D737180
	buffer_load_dwordx4 a[56:59], v37, s[24:27], 0 offen offset:2048// 00000000750C: E05C1800 80863825
	v_mfma_f32_16x16x32_fp8_fp8 v[92:95], a[130:131], v[186:187], v[92:95]// 000000007514: D3F3005C 0D737582
	v_mfma_f32_16x16x32_fp8_fp8 v[92:95], a[132:133], v[188:189], v[92:95]// 00000000751C: D3F3005C 0D737984
	ds_read_b128 v[224:227], v2 offset:9472                    // 000000007524: D9FE2500 E0000002
	v_mfma_f32_16x16x32_fp8_fp8 v[92:95], a[134:135], v[190:191], v[92:95]// 00000000752C: D3F3005C 0D737D86
	v_mfma_f32_16x16x32_fp8_fp8 v[92:95], a[136:137], v[192:193], v[92:95]// 000000007534: D3F3005C 0D738188
	buffer_load_dwordx4 a[60:63], v37, s[24:27], 0 offen offset:3072// 00000000753C: E05C1C00 80863C25
	v_mfma_f32_16x16x32_fp8_fp8 v[92:95], a[138:139], v[194:195], v[92:95]// 000000007544: D3F3005C 0D73858A
	v_mfma_f32_16x16x32_fp8_fp8 v[92:95], a[140:141], v[196:197], v[92:95]// 00000000754C: D3F3005C 0D73898C
	ds_read_b128 v[228:231], v2 offset:9536                    // 000000007554: D9FE2540 E4000002
	v_mfma_f32_16x16x32_fp8_fp8 v[92:95], a[142:143], v[198:199], v[92:95]// 00000000755C: D3F3005C 0D738D8E
	s_waitcnt vmcnt(16)                                        // 000000007564: BF8C4F70
	v_mfma_f32_16x16x32_fp8_fp8 v[96:99], a[144:145], v[168:169], v[96:99]// 000000007568: D3F30060 0D835190
	buffer_load_dwordx4 a[64:67], v38, s[24:27], 0 offen       // 000000007570: E05C1000 80864026
	v_mfma_f32_16x16x32_fp8_fp8 v[96:99], a[146:147], v[170:171], v[96:99]// 000000007578: D3F30060 0D835592
	v_mfma_f32_16x16x32_fp8_fp8 v[96:99], a[148:149], v[172:173], v[96:99]// 000000007580: D3F30060 0D835994
	v_mfma_f32_16x16x32_fp8_fp8 v[96:99], a[150:151], v[174:175], v[96:99]// 000000007588: D3F30060 0D835D96
	v_mfma_f32_16x16x32_fp8_fp8 v[96:99], a[152:153], v[176:177], v[96:99]// 000000007590: D3F30060 0D836198
	buffer_load_dwordx4 a[68:71], v38, s[24:27], 0 offen offset:1024// 000000007598: E05C1400 80864426
	v_mfma_f32_16x16x32_fp8_fp8 v[96:99], a[154:155], v[178:179], v[96:99]// 0000000075A0: D3F30060 0D83659A
	v_mfma_f32_16x16x32_fp8_fp8 v[96:99], a[156:157], v[180:181], v[96:99]// 0000000075A8: D3F30060 0D83699C
	v_mfma_f32_16x16x32_fp8_fp8 v[96:99], a[158:159], v[182:183], v[96:99]// 0000000075B0: D3F30060 0D836D9E
	v_mfma_f32_16x16x32_fp8_fp8 v[100:103], a[144:145], v[184:185], v[100:103]// 0000000075B8: D3F30064 0D937190
	buffer_load_dwordx4 a[72:75], v38, s[24:27], 0 offen offset:2048// 0000000075C0: E05C1800 80864826
	v_mfma_f32_16x16x32_fp8_fp8 v[100:103], a[146:147], v[186:187], v[100:103]// 0000000075C8: D3F30064 0D937592
	v_mfma_f32_16x16x32_fp8_fp8 v[100:103], a[148:149], v[188:189], v[100:103]// 0000000075D0: D3F30064 0D937994
	v_mfma_f32_16x16x32_fp8_fp8 v[100:103], a[150:151], v[190:191], v[100:103]// 0000000075D8: D3F30064 0D937D96
	v_mfma_f32_16x16x32_fp8_fp8 v[100:103], a[152:153], v[192:193], v[100:103]// 0000000075E0: D3F30064 0D938198
	buffer_load_dwordx4 a[76:79], v38, s[24:27], 0 offen offset:3072// 0000000075E8: E05C1C00 80864C26
	v_mfma_f32_16x16x32_fp8_fp8 v[100:103], a[154:155], v[194:195], v[100:103]// 0000000075F0: D3F30064 0D93859A
	v_mfma_f32_16x16x32_fp8_fp8 v[100:103], a[156:157], v[196:197], v[100:103]// 0000000075F8: D3F30064 0D93899C
	v_mfma_f32_16x16x32_fp8_fp8 v[100:103], a[158:159], v[198:199], v[100:103]// 000000007600: D3F30064 0D938D9E
	s_add_u32 s60, 0x200, s80                                  // 000000007608: 803C50FF 00000200
	s_cmp_lt_u32 s60, s81                                      // 000000007610: BF0A513C
	s_cselect_b32 s57, s57, 0                                  // 000000007614: 85398039
	s_add_u32 s60, 0x200, s80                                  // 000000007618: 803C50FF 00000200
	s_cmp_lt_u32 s60, s81                                      // 000000007620: BF0A513C
	s_cselect_b32 s58, s58, 0                                  // 000000007624: 853A803A
	s_add_u32 s20, s57, s20                                    // 000000007628: 80141439
	s_addc_u32 s21, 0, s21                                     // 00000000762C: 82151580
	s_add_u32 s24, s58, s24                                    // 000000007630: 8018183A
	s_addc_u32 s25, 0, s25                                     // 000000007634: 82191980
	s_add_u32 s92, s90, s92                                    // 000000007638: 805C5C5A
	s_addc_u32 s93, 0, s93                                     // 00000000763C: 825D5D80
	s_addk_i32 s80, 0x100                                      // 000000007640: B7500100
	s_cmp_lt_i32 s80, s81                                      // 000000007644: BF045150
	s_cbranch_scc0 label_13EE                                  // 000000007648: BF8401DB
	s_waitcnt vmcnt(12) lgkmcnt(0)                             // 00000000764C: BF8C007C
	s_barrier                                                  // 000000007650: BF8A0000
	v_mfma_f32_16x16x32_fp8_fp8 v[128:131], a[0:1], v[200:201], v[128:131]// 000000007654: D3F30080 0E039100
	buffer_load_dwordx4 a[80:83], v34, s[92:95], 0 offen       // 00000000765C: E05C1000 80975022
	v_mfma_f32_16x16x32_fp8_fp8 v[128:131], a[2:3], v[202:203], v[128:131]// 000000007664: D3F30080 0E039502
	v_mfma_f32_16x16x32_fp8_fp8 v[128:131], a[4:5], v[204:205], v[128:131]// 00000000766C: D3F30080 0E039904
	buffer_load_dword v26, s[20:23], 0 offen lds               // 000000007674: E0511000 8005001A
	s_add_u32 m0, 0x100, s50                                   // 00000000767C: 807C32FF 00000100
	v_mfma_f32_16x16x32_fp8_fp8 v[128:131], a[6:7], v[206:207], v[128:131]// 000000007684: D3F30080 0E039D06
	v_mfma_f32_16x16x32_fp8_fp8 v[128:131], a[8:9], v[208:209], v[128:131]// 00000000768C: D3F30080 0E03A108
	buffer_load_dwordx4 a[84:87], v34, s[92:95], 0 offen offset:1024// 000000007694: E05C1400 80975422
	v_mfma_f32_16x16x32_fp8_fp8 v[128:131], a[10:11], v[210:211], v[128:131]// 00000000769C: D3F30080 0E03A50A
	v_mfma_f32_16x16x32_fp8_fp8 v[128:131], a[12:13], v[212:213], v[128:131]// 0000000076A4: D3F30080 0E03A90C
	buffer_load_dword v27, s[20:23], 0 offen lds               // 0000000076AC: E0511000 8005001B
	s_add_u32 m0, 0x200, s50                                   // 0000000076B4: 807C32FF 00000200
	v_mfma_f32_16x16x32_fp8_fp8 v[128:131], a[14:15], v[214:215], v[128:131]// 0000000076BC: D3F30080 0E03AD0E
	v_mfma_f32_16x16x32_fp8_fp8 v[132:135], a[0:1], v[216:217], v[132:135]// 0000000076C4: D3F30084 0E13B100
	buffer_load_dwordx4 a[88:91], v34, s[92:95], 0 offen offset:2048// 0000000076CC: E05C1800 80975822
	v_mfma_f32_16x16x32_fp8_fp8 v[132:135], a[2:3], v[218:219], v[132:135]// 0000000076D4: D3F30084 0E13B502
	v_mfma_f32_16x16x32_fp8_fp8 v[132:135], a[4:5], v[220:221], v[132:135]// 0000000076DC: D3F30084 0E13B904
	buffer_load_dword v28, s[20:23], 0 offen lds               // 0000000076E4: E0511000 8005001C
	s_add_u32 m0, 0x300, s50                                   // 0000000076EC: 807C32FF 00000300
	v_mfma_f32_16x16x32_fp8_fp8 v[132:135], a[6:7], v[222:223], v[132:135]// 0000000076F4: D3F30084 0E13BD06
	v_mfma_f32_16x16x32_fp8_fp8 v[132:135], a[8:9], v[224:225], v[132:135]// 0000000076FC: D3F30084 0E13C108
	buffer_load_dwordx4 a[92:95], v34, s[92:95], 0 offen offset:3072// 000000007704: E05C1C00 80975C22
	v_mfma_f32_16x16x32_fp8_fp8 v[132:135], a[10:11], v[226:227], v[132:135]// 00000000770C: D3F30084 0E13C50A
	v_mfma_f32_16x16x32_fp8_fp8 v[132:135], a[12:13], v[228:229], v[132:135]// 000000007714: D3F30084 0E13C90C
	buffer_load_dword v29, s[20:23], 0 offen lds               // 00000000771C: E0511000 8005001D
	s_add_u32 m0, 0x400, s50                                   // 000000007724: 807C32FF 00000400
	v_mfma_f32_16x16x32_fp8_fp8 v[132:135], a[14:15], v[230:231], v[132:135]// 00000000772C: D3F30084 0E13CD0E
	v_mfma_f32_16x16x32_fp8_fp8 v[136:139], a[16:17], v[200:201], v[136:139]// 000000007734: D3F30088 0E239110
	buffer_load_dwordx4 a[96:99], v35, s[92:95], 0 offen       // 00000000773C: E05C1000 80976023
	v_mfma_f32_16x16x32_fp8_fp8 v[136:139], a[18:19], v[202:203], v[136:139]// 000000007744: D3F30088 0E239512
	v_mfma_f32_16x16x32_fp8_fp8 v[136:139], a[20:21], v[204:205], v[136:139]// 00000000774C: D3F30088 0E239914
	buffer_load_dword v30, s[20:23], 0 offen lds               // 000000007754: E0511000 8005001E
	s_add_u32 m0, 0x500, s50                                   // 00000000775C: 807C32FF 00000500
	v_mfma_f32_16x16x32_fp8_fp8 v[136:139], a[22:23], v[206:207], v[136:139]// 000000007764: D3F30088 0E239D16
	v_mfma_f32_16x16x32_fp8_fp8 v[136:139], a[24:25], v[208:209], v[136:139]// 00000000776C: D3F30088 0E23A118
	buffer_load_dwordx4 a[100:103], v35, s[92:95], 0 offen offset:1024// 000000007774: E05C1400 80976423
	v_mfma_f32_16x16x32_fp8_fp8 v[136:139], a[26:27], v[210:211], v[136:139]// 00000000777C: D3F30088 0E23A51A
	v_mfma_f32_16x16x32_fp8_fp8 v[136:139], a[28:29], v[212:213], v[136:139]// 000000007784: D3F30088 0E23A91C
	buffer_load_dword v31, s[20:23], 0 offen lds               // 00000000778C: E0511000 8005001F
	s_add_u32 m0, 0x600, s50                                   // 000000007794: 807C32FF 00000600
	v_mfma_f32_16x16x32_fp8_fp8 v[136:139], a[30:31], v[214:215], v[136:139]// 00000000779C: D3F30088 0E23AD1E
	v_mfma_f32_16x16x32_fp8_fp8 v[140:143], a[16:17], v[216:217], v[140:143]// 0000000077A4: D3F3008C 0E33B110
	buffer_load_dwordx4 a[104:107], v35, s[92:95], 0 offen offset:2048// 0000000077AC: E05C1800 80976823
	v_mfma_f32_16x16x32_fp8_fp8 v[140:143], a[18:19], v[218:219], v[140:143]// 0000000077B4: D3F3008C 0E33B512
	v_mfma_f32_16x16x32_fp8_fp8 v[140:143], a[20:21], v[220:221], v[140:143]// 0000000077BC: D3F3008C 0E33B914
	buffer_load_dword v32, s[20:23], 0 offen lds               // 0000000077C4: E0511000 80050020
	s_add_u32 m0, 0x700, s50                                   // 0000000077CC: 807C32FF 00000700
	v_mfma_f32_16x16x32_fp8_fp8 v[140:143], a[22:23], v[222:223], v[140:143]// 0000000077D4: D3F3008C 0E33BD16
	v_mfma_f32_16x16x32_fp8_fp8 v[140:143], a[24:25], v[224:225], v[140:143]// 0000000077DC: D3F3008C 0E33C118
	buffer_load_dwordx4 a[108:111], v35, s[92:95], 0 offen offset:3072// 0000000077E4: E05C1C00 80976C23
	v_mfma_f32_16x16x32_fp8_fp8 v[140:143], a[26:27], v[226:227], v[140:143]// 0000000077EC: D3F3008C 0E33C51A
	v_mfma_f32_16x16x32_fp8_fp8 v[140:143], a[28:29], v[228:229], v[140:143]// 0000000077F4: D3F3008C 0E33C91C
	buffer_load_dword v33, s[20:23], 0 offen lds               // 0000000077FC: E0511000 80050021
	s_add_u32 m0, 0, s51                                       // 000000007804: 807C3380
	v_mfma_f32_16x16x32_fp8_fp8 v[140:143], a[30:31], v[230:231], v[140:143]// 000000007808: D3F3008C 0E33CD1E
	s_waitcnt vmcnt(24)                                        // 000000007810: BF8C4F78
	v_mfma_f32_16x16x32_fp8_fp8 v[144:147], a[32:33], v[200:201], v[144:147]// 000000007814: D3F30090 0E439120
	buffer_load_dwordx4 a[112:115], v36, s[92:95], 0 offen     // 00000000781C: E05C1000 80977024
	v_mfma_f32_16x16x32_fp8_fp8 v[144:147], a[34:35], v[202:203], v[144:147]// 000000007824: D3F30090 0E439522
	v_mfma_f32_16x16x32_fp8_fp8 v[144:147], a[36:37], v[204:205], v[144:147]// 00000000782C: D3F30090 0E439924
	v_mfma_f32_16x16x32_fp8_fp8 v[144:147], a[38:39], v[206:207], v[144:147]// 000000007834: D3F30090 0E439D26
	v_mfma_f32_16x16x32_fp8_fp8 v[144:147], a[40:41], v[208:209], v[144:147]// 00000000783C: D3F30090 0E43A128
	buffer_load_dwordx4 a[116:119], v36, s[92:95], 0 offen offset:1024// 000000007844: E05C1400 80977424
	v_mfma_f32_16x16x32_fp8_fp8 v[144:147], a[42:43], v[210:211], v[144:147]// 00000000784C: D3F30090 0E43A52A
	v_mfma_f32_16x16x32_fp8_fp8 v[144:147], a[44:45], v[212:213], v[144:147]// 000000007854: D3F30090 0E43A92C
	v_mfma_f32_16x16x32_fp8_fp8 v[144:147], a[46:47], v[214:215], v[144:147]// 00000000785C: D3F30090 0E43AD2E
	v_mfma_f32_16x16x32_fp8_fp8 v[148:151], a[32:33], v[216:217], v[148:151]// 000000007864: D3F30094 0E53B120
	buffer_load_dwordx4 a[120:123], v36, s[92:95], 0 offen offset:2048// 00000000786C: E05C1800 80977824
	v_mfma_f32_16x16x32_fp8_fp8 v[148:151], a[34:35], v[218:219], v[148:151]// 000000007874: D3F30094 0E53B522
	v_mfma_f32_16x16x32_fp8_fp8 v[148:151], a[36:37], v[220:221], v[148:151]// 00000000787C: D3F30094 0E53B924
	v_mfma_f32_16x16x32_fp8_fp8 v[148:151], a[38:39], v[222:223], v[148:151]// 000000007884: D3F30094 0E53BD26
	v_mfma_f32_16x16x32_fp8_fp8 v[148:151], a[40:41], v[224:225], v[148:151]// 00000000788C: D3F30094 0E53C128
	buffer_load_dwordx4 a[124:127], v36, s[92:95], 0 offen offset:3072// 000000007894: E05C1C00 80977C24
	v_mfma_f32_16x16x32_fp8_fp8 v[148:151], a[42:43], v[226:227], v[148:151]// 00000000789C: D3F30094 0E53C52A
	v_mfma_f32_16x16x32_fp8_fp8 v[148:151], a[44:45], v[228:229], v[148:151]// 0000000078A4: D3F30094 0E53C92C
	v_mfma_f32_16x16x32_fp8_fp8 v[148:151], a[46:47], v[230:231], v[148:151]// 0000000078AC: D3F30094 0E53CD2E
	s_waitcnt vmcnt(24)                                        // 0000000078B4: BF8C4F78
	v_mfma_f32_16x16x32_fp8_fp8 v[152:155], a[48:49], v[200:201], v[152:155]// 0000000078B8: D3F30098 0E639130
	buffer_load_dwordx4 a[128:131], v37, s[92:95], 0 offen     // 0000000078C0: E05C1000 80978025
	v_mfma_f32_16x16x32_fp8_fp8 v[152:155], a[50:51], v[202:203], v[152:155]// 0000000078C8: D3F30098 0E639532
	v_mfma_f32_16x16x32_fp8_fp8 v[152:155], a[52:53], v[204:205], v[152:155]// 0000000078D0: D3F30098 0E639934
	v_mfma_f32_16x16x32_fp8_fp8 v[152:155], a[54:55], v[206:207], v[152:155]// 0000000078D8: D3F30098 0E639D36
	v_mfma_f32_16x16x32_fp8_fp8 v[152:155], a[56:57], v[208:209], v[152:155]// 0000000078E0: D3F30098 0E63A138
	buffer_load_dwordx4 a[132:135], v37, s[92:95], 0 offen offset:1024// 0000000078E8: E05C1400 80978425
	v_mfma_f32_16x16x32_fp8_fp8 v[152:155], a[58:59], v[210:211], v[152:155]// 0000000078F0: D3F30098 0E63A53A
	v_mfma_f32_16x16x32_fp8_fp8 v[152:155], a[60:61], v[212:213], v[152:155]// 0000000078F8: D3F30098 0E63A93C
	v_mfma_f32_16x16x32_fp8_fp8 v[152:155], a[62:63], v[214:215], v[152:155]// 000000007900: D3F30098 0E63AD3E
	v_mfma_f32_16x16x32_fp8_fp8 v[156:159], a[48:49], v[216:217], v[156:159]// 000000007908: D3F3009C 0E73B130
	buffer_load_dwordx4 a[136:139], v37, s[92:95], 0 offen offset:2048// 000000007910: E05C1800 80978825
	v_mfma_f32_16x16x32_fp8_fp8 v[156:159], a[50:51], v[218:219], v[156:159]// 000000007918: D3F3009C 0E73B532
	v_mfma_f32_16x16x32_fp8_fp8 v[156:159], a[52:53], v[220:221], v[156:159]// 000000007920: D3F3009C 0E73B934
	v_mfma_f32_16x16x32_fp8_fp8 v[156:159], a[54:55], v[222:223], v[156:159]// 000000007928: D3F3009C 0E73BD36
	v_mfma_f32_16x16x32_fp8_fp8 v[156:159], a[56:57], v[224:225], v[156:159]// 000000007930: D3F3009C 0E73C138
	buffer_load_dwordx4 a[140:143], v37, s[92:95], 0 offen offset:3072// 000000007938: E05C1C00 80978C25
	v_mfma_f32_16x16x32_fp8_fp8 v[156:159], a[58:59], v[226:227], v[156:159]// 000000007940: D3F3009C 0E73C53A
	v_mfma_f32_16x16x32_fp8_fp8 v[156:159], a[60:61], v[228:229], v[156:159]// 000000007948: D3F3009C 0E73C93C
	v_mfma_f32_16x16x32_fp8_fp8 v[156:159], a[62:63], v[230:231], v[156:159]// 000000007950: D3F3009C 0E73CD3E
	s_waitcnt vmcnt(24)                                        // 000000007958: BF8C4F78
	v_mfma_f32_16x16x32_fp8_fp8 v[160:163], a[64:65], v[200:201], v[160:163]// 00000000795C: D3F300A0 0E839140
	buffer_load_dwordx4 a[144:147], v38, s[92:95], 0 offen     // 000000007964: E05C1000 80979026
	v_mfma_f32_16x16x32_fp8_fp8 v[160:163], a[66:67], v[202:203], v[160:163]// 00000000796C: D3F300A0 0E839542
	v_mfma_f32_16x16x32_fp8_fp8 v[160:163], a[68:69], v[204:205], v[160:163]// 000000007974: D3F300A0 0E839944
	v_mfma_f32_16x16x32_fp8_fp8 v[160:163], a[70:71], v[206:207], v[160:163]// 00000000797C: D3F300A0 0E839D46
	v_mfma_f32_16x16x32_fp8_fp8 v[160:163], a[72:73], v[208:209], v[160:163]// 000000007984: D3F300A0 0E83A148
	buffer_load_dwordx4 a[148:151], v38, s[92:95], 0 offen offset:1024// 00000000798C: E05C1400 80979426
	v_mfma_f32_16x16x32_fp8_fp8 v[160:163], a[74:75], v[210:211], v[160:163]// 000000007994: D3F300A0 0E83A54A
	v_mfma_f32_16x16x32_fp8_fp8 v[160:163], a[76:77], v[212:213], v[160:163]// 00000000799C: D3F300A0 0E83A94C
	v_mfma_f32_16x16x32_fp8_fp8 v[160:163], a[78:79], v[214:215], v[160:163]// 0000000079A4: D3F300A0 0E83AD4E
	v_mfma_f32_16x16x32_fp8_fp8 v[164:167], a[64:65], v[216:217], v[164:167]// 0000000079AC: D3F300A4 0E93B140
	buffer_load_dwordx4 a[152:155], v38, s[92:95], 0 offen offset:2048// 0000000079B4: E05C1800 80979826
	v_mfma_f32_16x16x32_fp8_fp8 v[164:167], a[66:67], v[218:219], v[164:167]// 0000000079BC: D3F300A4 0E93B542
	v_mfma_f32_16x16x32_fp8_fp8 v[164:167], a[68:69], v[220:221], v[164:167]// 0000000079C4: D3F300A4 0E93B944
	v_mfma_f32_16x16x32_fp8_fp8 v[164:167], a[70:71], v[222:223], v[164:167]// 0000000079CC: D3F300A4 0E93BD46
	v_mfma_f32_16x16x32_fp8_fp8 v[164:167], a[72:73], v[224:225], v[164:167]// 0000000079D4: D3F300A4 0E93C148
	buffer_load_dwordx4 a[156:159], v38, s[92:95], 0 offen offset:3072// 0000000079DC: E05C1C00 80979C26
	v_mfma_f32_16x16x32_fp8_fp8 v[164:167], a[74:75], v[226:227], v[164:167]// 0000000079E4: D3F300A4 0E93C54A
	v_mfma_f32_16x16x32_fp8_fp8 v[164:167], a[76:77], v[228:229], v[164:167]// 0000000079EC: D3F300A4 0E93C94C
	v_mfma_f32_16x16x32_fp8_fp8 v[164:167], a[78:79], v[230:231], v[164:167]// 0000000079F4: D3F300A4 0E93CD4E
	s_waitcnt vmcnt(12)                                        // 0000000079FC: BF8C0F7C
	s_barrier                                                  // 000000007A00: BF8A0000
	v_mfma_f32_16x16x32_fp8_fp8 v[64:67], a[80:81], v[200:201], v[64:67]// 000000007A04: D3F30040 0D039150
	buffer_load_dwordx4 a[0:3], v34, s[24:27], 0 offen         // 000000007A0C: E05C1000 80860022
	v_mfma_f32_16x16x32_fp8_fp8 v[64:67], a[82:83], v[202:203], v[64:67]// 000000007A14: D3F30040 0D039552
	v_mfma_f32_16x16x32_fp8_fp8 v[64:67], a[84:85], v[204:205], v[64:67]// 000000007A1C: D3F30040 0D039954
	v_mfma_f32_16x16x32_fp8_fp8 v[64:67], a[86:87], v[206:207], v[64:67]// 000000007A24: D3F30040 0D039D56
	v_mfma_f32_16x16x32_fp8_fp8 v[64:67], a[88:89], v[208:209], v[64:67]// 000000007A2C: D3F30040 0D03A158
	buffer_load_dwordx4 a[4:7], v34, s[24:27], 0 offen offset:1024// 000000007A34: E05C1400 80860422
	v_mfma_f32_16x16x32_fp8_fp8 v[64:67], a[90:91], v[210:211], v[64:67]// 000000007A3C: D3F30040 0D03A55A
	v_mfma_f32_16x16x32_fp8_fp8 v[64:67], a[92:93], v[212:213], v[64:67]// 000000007A44: D3F30040 0D03A95C
	v_mfma_f32_16x16x32_fp8_fp8 v[64:67], a[94:95], v[214:215], v[64:67]// 000000007A4C: D3F30040 0D03AD5E
	v_mfma_f32_16x16x32_fp8_fp8 v[68:71], a[80:81], v[216:217], v[68:71]// 000000007A54: D3F30044 0D13B150
	buffer_load_dwordx4 a[8:11], v34, s[24:27], 0 offen offset:2048// 000000007A5C: E05C1800 80860822
	v_mfma_f32_16x16x32_fp8_fp8 v[68:71], a[82:83], v[218:219], v[68:71]// 000000007A64: D3F30044 0D13B552
	v_mfma_f32_16x16x32_fp8_fp8 v[68:71], a[84:85], v[220:221], v[68:71]// 000000007A6C: D3F30044 0D13B954
	v_mfma_f32_16x16x32_fp8_fp8 v[68:71], a[86:87], v[222:223], v[68:71]// 000000007A74: D3F30044 0D13BD56
	v_mfma_f32_16x16x32_fp8_fp8 v[68:71], a[88:89], v[224:225], v[68:71]// 000000007A7C: D3F30044 0D13C158
	buffer_load_dwordx4 a[12:15], v34, s[24:27], 0 offen offset:3072// 000000007A84: E05C1C00 80860C22
	v_mfma_f32_16x16x32_fp8_fp8 v[68:71], a[90:91], v[226:227], v[68:71]// 000000007A8C: D3F30044 0D13C55A
	v_mfma_f32_16x16x32_fp8_fp8 v[68:71], a[92:93], v[228:229], v[68:71]// 000000007A94: D3F30044 0D13C95C
	v_mfma_f32_16x16x32_fp8_fp8 v[68:71], a[94:95], v[230:231], v[68:71]// 000000007A9C: D3F30044 0D13CD5E
	v_mfma_f32_16x16x32_fp8_fp8 v[72:75], a[96:97], v[200:201], v[72:75]// 000000007AA4: D3F30048 0D239160
	buffer_load_dwordx4 a[16:19], v35, s[24:27], 0 offen       // 000000007AAC: E05C1000 80861023
	v_mfma_f32_16x16x32_fp8_fp8 v[72:75], a[98:99], v[202:203], v[72:75]// 000000007AB4: D3F30048 0D239562
	v_mfma_f32_16x16x32_fp8_fp8 v[72:75], a[100:101], v[204:205], v[72:75]// 000000007ABC: D3F30048 0D239964
	v_mfma_f32_16x16x32_fp8_fp8 v[72:75], a[102:103], v[206:207], v[72:75]// 000000007AC4: D3F30048 0D239D66
	v_mfma_f32_16x16x32_fp8_fp8 v[72:75], a[104:105], v[208:209], v[72:75]// 000000007ACC: D3F30048 0D23A168
	buffer_load_dwordx4 a[20:23], v35, s[24:27], 0 offen offset:1024// 000000007AD4: E05C1400 80861423
	v_mfma_f32_16x16x32_fp8_fp8 v[72:75], a[106:107], v[210:211], v[72:75]// 000000007ADC: D3F30048 0D23A56A
	v_mfma_f32_16x16x32_fp8_fp8 v[72:75], a[108:109], v[212:213], v[72:75]// 000000007AE4: D3F30048 0D23A96C
	v_mfma_f32_16x16x32_fp8_fp8 v[72:75], a[110:111], v[214:215], v[72:75]// 000000007AEC: D3F30048 0D23AD6E
	v_mfma_f32_16x16x32_fp8_fp8 v[76:79], a[96:97], v[216:217], v[76:79]// 000000007AF4: D3F3004C 0D33B160
	buffer_load_dwordx4 a[24:27], v35, s[24:27], 0 offen offset:2048// 000000007AFC: E05C1800 80861823
	v_mfma_f32_16x16x32_fp8_fp8 v[76:79], a[98:99], v[218:219], v[76:79]// 000000007B04: D3F3004C 0D33B562
	v_mfma_f32_16x16x32_fp8_fp8 v[76:79], a[100:101], v[220:221], v[76:79]// 000000007B0C: D3F3004C 0D33B964
	v_mfma_f32_16x16x32_fp8_fp8 v[76:79], a[102:103], v[222:223], v[76:79]// 000000007B14: D3F3004C 0D33BD66
	v_mfma_f32_16x16x32_fp8_fp8 v[76:79], a[104:105], v[224:225], v[76:79]// 000000007B1C: D3F3004C 0D33C168
	buffer_load_dwordx4 a[28:31], v35, s[24:27], 0 offen offset:3072// 000000007B24: E05C1C00 80861C23
	v_mfma_f32_16x16x32_fp8_fp8 v[76:79], a[106:107], v[226:227], v[76:79]// 000000007B2C: D3F3004C 0D33C56A
	v_mfma_f32_16x16x32_fp8_fp8 v[76:79], a[108:109], v[228:229], v[76:79]// 000000007B34: D3F3004C 0D33C96C
	v_mfma_f32_16x16x32_fp8_fp8 v[76:79], a[110:111], v[230:231], v[76:79]// 000000007B3C: D3F3004C 0D33CD6E
	s_waitcnt vmcnt(16)                                        // 000000007B44: BF8C4F70
	v_mfma_f32_16x16x32_fp8_fp8 v[80:83], a[112:113], v[200:201], v[80:83]// 000000007B48: D3F30050 0D439170
	buffer_load_dwordx4 a[32:35], v36, s[24:27], 0 offen       // 000000007B50: E05C1000 80862024
	v_mfma_f32_16x16x32_fp8_fp8 v[80:83], a[114:115], v[202:203], v[80:83]// 000000007B58: D3F30050 0D439572
	v_mfma_f32_16x16x32_fp8_fp8 v[80:83], a[116:117], v[204:205], v[80:83]// 000000007B60: D3F30050 0D439974
	ds_read_b128 v[168:171], v2                                // 000000007B68: D9FE0000 A8000002
	v_mfma_f32_16x16x32_fp8_fp8 v[80:83], a[118:119], v[206:207], v[80:83]// 000000007B70: D3F30050 0D439D76
	v_mfma_f32_16x16x32_fp8_fp8 v[80:83], a[120:121], v[208:209], v[80:83]// 000000007B78: D3F30050 0D43A178
	buffer_load_dwordx4 a[36:39], v36, s[24:27], 0 offen offset:1024// 000000007B80: E05C1400 80862424
	v_mfma_f32_16x16x32_fp8_fp8 v[80:83], a[122:123], v[210:211], v[80:83]// 000000007B88: D3F30050 0D43A57A
	v_mfma_f32_16x16x32_fp8_fp8 v[80:83], a[124:125], v[212:213], v[80:83]// 000000007B90: D3F30050 0D43A97C
	ds_read_b128 v[172:175], v2 offset:64                      // 000000007B98: D9FE0040 AC000002
	v_mfma_f32_16x16x32_fp8_fp8 v[80:83], a[126:127], v[214:215], v[80:83]// 000000007BA0: D3F30050 0D43AD7E
	v_mfma_f32_16x16x32_fp8_fp8 v[84:87], a[112:113], v[216:217], v[84:87]// 000000007BA8: D3F30054 0D53B170
	buffer_load_dwordx4 a[40:43], v36, s[24:27], 0 offen offset:2048// 000000007BB0: E05C1800 80862824
	v_mfma_f32_16x16x32_fp8_fp8 v[84:87], a[114:115], v[218:219], v[84:87]// 000000007BB8: D3F30054 0D53B572
	v_mfma_f32_16x16x32_fp8_fp8 v[84:87], a[116:117], v[220:221], v[84:87]// 000000007BC0: D3F30054 0D53B974
	ds_read_b128 v[176:179], v2 offset:128                     // 000000007BC8: D9FE0080 B0000002
	v_mfma_f32_16x16x32_fp8_fp8 v[84:87], a[118:119], v[222:223], v[84:87]// 000000007BD0: D3F30054 0D53BD76
	v_mfma_f32_16x16x32_fp8_fp8 v[84:87], a[120:121], v[224:225], v[84:87]// 000000007BD8: D3F30054 0D53C178
	buffer_load_dwordx4 a[44:47], v36, s[24:27], 0 offen offset:3072// 000000007BE0: E05C1C00 80862C24
	v_mfma_f32_16x16x32_fp8_fp8 v[84:87], a[122:123], v[226:227], v[84:87]// 000000007BE8: D3F30054 0D53C57A
	v_mfma_f32_16x16x32_fp8_fp8 v[84:87], a[124:125], v[228:229], v[84:87]// 000000007BF0: D3F30054 0D53C97C
	ds_read_b128 v[180:183], v2 offset:192                     // 000000007BF8: D9FE00C0 B4000002
	v_mfma_f32_16x16x32_fp8_fp8 v[84:87], a[126:127], v[230:231], v[84:87]// 000000007C00: D3F30054 0D53CD7E
	s_waitcnt vmcnt(16)                                        // 000000007C08: BF8C4F70
	v_mfma_f32_16x16x32_fp8_fp8 v[88:91], a[128:129], v[200:201], v[88:91]// 000000007C0C: D3F30058 0D639180
	buffer_load_dwordx4 a[48:51], v37, s[24:27], 0 offen       // 000000007C14: E05C1000 80863025
	v_mfma_f32_16x16x32_fp8_fp8 v[88:91], a[130:131], v[202:203], v[88:91]// 000000007C1C: D3F30058 0D639582
	v_mfma_f32_16x16x32_fp8_fp8 v[88:91], a[132:133], v[204:205], v[88:91]// 000000007C24: D3F30058 0D639984
	ds_read_b128 v[184:187], v2 offset:1024                    // 000000007C2C: D9FE0400 B8000002
	v_mfma_f32_16x16x32_fp8_fp8 v[88:91], a[134:135], v[206:207], v[88:91]// 000000007C34: D3F30058 0D639D86
	v_mfma_f32_16x16x32_fp8_fp8 v[88:91], a[136:137], v[208:209], v[88:91]// 000000007C3C: D3F30058 0D63A188
	buffer_load_dwordx4 a[52:55], v37, s[24:27], 0 offen offset:1024// 000000007C44: E05C1400 80863425
	v_mfma_f32_16x16x32_fp8_fp8 v[88:91], a[138:139], v[210:211], v[88:91]// 000000007C4C: D3F30058 0D63A58A
	v_mfma_f32_16x16x32_fp8_fp8 v[88:91], a[140:141], v[212:213], v[88:91]// 000000007C54: D3F30058 0D63A98C
	ds_read_b128 v[188:191], v2 offset:1088                    // 000000007C5C: D9FE0440 BC000002
	v_mfma_f32_16x16x32_fp8_fp8 v[88:91], a[142:143], v[214:215], v[88:91]// 000000007C64: D3F30058 0D63AD8E
	v_mfma_f32_16x16x32_fp8_fp8 v[92:95], a[128:129], v[216:217], v[92:95]// 000000007C6C: D3F3005C 0D73B180
	buffer_load_dwordx4 a[56:59], v37, s[24:27], 0 offen offset:2048// 000000007C74: E05C1800 80863825
	v_mfma_f32_16x16x32_fp8_fp8 v[92:95], a[130:131], v[218:219], v[92:95]// 000000007C7C: D3F3005C 0D73B582
	v_mfma_f32_16x16x32_fp8_fp8 v[92:95], a[132:133], v[220:221], v[92:95]// 000000007C84: D3F3005C 0D73B984
	ds_read_b128 v[192:195], v2 offset:1152                    // 000000007C8C: D9FE0480 C0000002
	v_mfma_f32_16x16x32_fp8_fp8 v[92:95], a[134:135], v[222:223], v[92:95]// 000000007C94: D3F3005C 0D73BD86
	v_mfma_f32_16x16x32_fp8_fp8 v[92:95], a[136:137], v[224:225], v[92:95]// 000000007C9C: D3F3005C 0D73C188
	buffer_load_dwordx4 a[60:63], v37, s[24:27], 0 offen offset:3072// 000000007CA4: E05C1C00 80863C25
	v_mfma_f32_16x16x32_fp8_fp8 v[92:95], a[138:139], v[226:227], v[92:95]// 000000007CAC: D3F3005C 0D73C58A
	v_mfma_f32_16x16x32_fp8_fp8 v[92:95], a[140:141], v[228:229], v[92:95]// 000000007CB4: D3F3005C 0D73C98C
	ds_read_b128 v[196:199], v2 offset:1216                    // 000000007CBC: D9FE04C0 C4000002
	v_mfma_f32_16x16x32_fp8_fp8 v[92:95], a[142:143], v[230:231], v[92:95]// 000000007CC4: D3F3005C 0D73CD8E
	s_waitcnt vmcnt(16)                                        // 000000007CCC: BF8C4F70
	v_mfma_f32_16x16x32_fp8_fp8 v[96:99], a[144:145], v[200:201], v[96:99]// 000000007CD0: D3F30060 0D839190
	buffer_load_dwordx4 a[64:67], v38, s[24:27], 0 offen       // 000000007CD8: E05C1000 80864026
	v_mfma_f32_16x16x32_fp8_fp8 v[96:99], a[146:147], v[202:203], v[96:99]// 000000007CE0: D3F30060 0D839592
	v_mfma_f32_16x16x32_fp8_fp8 v[96:99], a[148:149], v[204:205], v[96:99]// 000000007CE8: D3F30060 0D839994
	v_mfma_f32_16x16x32_fp8_fp8 v[96:99], a[150:151], v[206:207], v[96:99]// 000000007CF0: D3F30060 0D839D96
	v_mfma_f32_16x16x32_fp8_fp8 v[96:99], a[152:153], v[208:209], v[96:99]// 000000007CF8: D3F30060 0D83A198
	buffer_load_dwordx4 a[68:71], v38, s[24:27], 0 offen offset:1024// 000000007D00: E05C1400 80864426
	v_mfma_f32_16x16x32_fp8_fp8 v[96:99], a[154:155], v[210:211], v[96:99]// 000000007D08: D3F30060 0D83A59A
	v_mfma_f32_16x16x32_fp8_fp8 v[96:99], a[156:157], v[212:213], v[96:99]// 000000007D10: D3F30060 0D83A99C
	v_mfma_f32_16x16x32_fp8_fp8 v[96:99], a[158:159], v[214:215], v[96:99]// 000000007D18: D3F30060 0D83AD9E
	v_mfma_f32_16x16x32_fp8_fp8 v[100:103], a[144:145], v[216:217], v[100:103]// 000000007D20: D3F30064 0D93B190
	buffer_load_dwordx4 a[72:75], v38, s[24:27], 0 offen offset:2048// 000000007D28: E05C1800 80864826
	v_mfma_f32_16x16x32_fp8_fp8 v[100:103], a[146:147], v[218:219], v[100:103]// 000000007D30: D3F30064 0D93B592
	v_mfma_f32_16x16x32_fp8_fp8 v[100:103], a[148:149], v[220:221], v[100:103]// 000000007D38: D3F30064 0D93B994
	v_mfma_f32_16x16x32_fp8_fp8 v[100:103], a[150:151], v[222:223], v[100:103]// 000000007D40: D3F30064 0D93BD96
	v_mfma_f32_16x16x32_fp8_fp8 v[100:103], a[152:153], v[224:225], v[100:103]// 000000007D48: D3F30064 0D93C198
	buffer_load_dwordx4 a[76:79], v38, s[24:27], 0 offen offset:3072// 000000007D50: E05C1C00 80864C26
	v_mfma_f32_16x16x32_fp8_fp8 v[100:103], a[154:155], v[226:227], v[100:103]// 000000007D58: D3F30064 0D93C59A
	v_mfma_f32_16x16x32_fp8_fp8 v[100:103], a[156:157], v[228:229], v[100:103]// 000000007D60: D3F30064 0D93C99C
	v_mfma_f32_16x16x32_fp8_fp8 v[100:103], a[158:159], v[230:231], v[100:103]// 000000007D68: D3F30064 0D93CD9E
	s_add_u32 s60, 0x200, s80                                  // 000000007D70: 803C50FF 00000200
	s_cmp_lt_u32 s60, s81                                      // 000000007D78: BF0A513C
	s_cselect_b32 s57, s57, 0                                  // 000000007D7C: 85398039
	s_add_u32 s60, 0x200, s80                                  // 000000007D80: 803C50FF 00000200
	s_cmp_lt_u32 s60, s81                                      // 000000007D88: BF0A513C
	s_cselect_b32 s58, s58, 0                                  // 000000007D8C: 853A803A
	s_add_u32 s20, s57, s20                                    // 000000007D90: 80141439
	s_addc_u32 s21, 0, s21                                     // 000000007D94: 82151580
	s_add_u32 s24, s58, s24                                    // 000000007D98: 8018183A
	s_addc_u32 s25, 0, s25                                     // 000000007D9C: 82191980
	s_add_u32 s92, s90, s92                                    // 000000007DA0: 805C5C5A
	s_addc_u32 s93, 0, s93                                     // 000000007DA4: 825D5D80
	s_addk_i32 s80, 0x100                                      // 000000007DA8: B7500100
	s_cmp_lt_i32 s80, s81                                      // 000000007DAC: BF045150
	s_cbranch_scc0 label_13EE                                  // 000000007DB0: BF840001
	s_branch label_1039                                        // 000000007DB4: BF82FC4B

0000000000007db8 <label_13EE>:
	s_mov_b32 s36, -1                                          // 000000007DB8: BEA400C1
	s_mov_b32 s37, -1                                          // 000000007DBC: BEA500C1
	s_mov_b64 s[60:61], 0                                      // 000000007DC0: BEBC0180
	s_cmp_lt_u32 s82, s66                                      // 000000007DC4: BF0A4252
	s_cselect_b64 s[20:21], s[36:37], s[60:61]                 // 000000007DC8: 85943C24
	s_cmp_lt_u32 s83, s66                                      // 000000007DCC: BF0A4253
	s_cselect_b64 s[22:23], s[36:37], s[60:61]                 // 000000007DD0: 85963C24
	s_cmp_lt_u32 s84, s66                                      // 000000007DD4: BF0A4254
	s_cselect_b64 s[24:25], s[36:37], s[60:61]                 // 000000007DD8: 85983C24
	s_cmp_lt_u32 s85, s66                                      // 000000007DDC: BF0A4255
	s_cselect_b64 s[26:27], s[36:37], s[60:61]                 // 000000007DE0: 859A3C24
	s_cmp_lt_u32 s86, s66                                      // 000000007DE4: BF0A4256
	s_cselect_b64 s[28:29], s[36:37], s[60:61]                 // 000000007DE8: 859C3C24
	s_cmp_lt_u32 s87, s66                                      // 000000007DEC: BF0A4257
	s_cselect_b64 s[30:31], s[36:37], s[60:61]                 // 000000007DF0: 859E3C24
	s_cmp_lt_u32 s88, s66                                      // 000000007DF4: BF0A4258
	s_cselect_b64 s[32:33], s[36:37], s[60:61]                 // 000000007DF8: 85A03C24
	s_cmp_lt_u32 s89, s66                                      // 000000007DFC: BF0A4259
	s_cselect_b64 s[34:35], s[36:37], s[60:61]                 // 000000007E00: 85A23C24
	v_mul_f32_e32 v128, v14, v128                              // 000000007E04: 0B01010E
	v_mul_f32_e32 v129, v14, v129                              // 000000007E08: 0B03030E
	v_mul_f32_e32 v130, v14, v130                              // 000000007E0C: 0B05050E
	v_mul_f32_e32 v131, v14, v131                              // 000000007E10: 0B07070E
	v_mul_f32_dpp v128, v16, v128 row_newbcast:0 row_mask:0xf bank_mask:0xf// 000000007E14: 0B0100FA FF015010
	v_mul_f32_dpp v129, v16, v129 row_newbcast:1 row_mask:0xf bank_mask:0xf// 000000007E1C: 0B0302FA FF015110
	v_mul_f32_dpp v130, v16, v130 row_newbcast:2 row_mask:0xf bank_mask:0xf// 000000007E24: 0B0504FA FF015210
	v_mul_f32_dpp v131, v16, v131 row_newbcast:3 row_mask:0xf bank_mask:0xf// 000000007E2C: 0B0706FA FF015310
	v_mul_f32_e32 v132, v15, v132                              // 000000007E34: 0B09090F
	v_mul_f32_e32 v133, v15, v133                              // 000000007E38: 0B0B0B0F
	v_mul_f32_e32 v134, v15, v134                              // 000000007E3C: 0B0D0D0F
	v_mul_f32_e32 v135, v15, v135                              // 000000007E40: 0B0F0F0F
	v_mul_f32_dpp v132, v16, v132 row_newbcast:0 row_mask:0xf bank_mask:0xf// 000000007E44: 0B0908FA FF015010
	v_mul_f32_dpp v133, v16, v133 row_newbcast:1 row_mask:0xf bank_mask:0xf// 000000007E4C: 0B0B0AFA FF015110
	v_mul_f32_dpp v134, v16, v134 row_newbcast:2 row_mask:0xf bank_mask:0xf// 000000007E54: 0B0D0CFA FF015210
	v_mul_f32_dpp v135, v16, v135 row_newbcast:3 row_mask:0xf bank_mask:0xf// 000000007E5C: 0B0F0EFA FF015310
	v_mul_f32_e32 v136, v14, v136                              // 000000007E64: 0B11110E
	v_mul_f32_e32 v137, v14, v137                              // 000000007E68: 0B13130E
	v_mul_f32_e32 v138, v14, v138                              // 000000007E6C: 0B15150E
	v_mul_f32_e32 v139, v14, v139                              // 000000007E70: 0B17170E
	v_mul_f32_dpp v136, v16, v136 row_newbcast:4 row_mask:0xf bank_mask:0xf// 000000007E74: 0B1110FA FF015410
	v_mul_f32_dpp v137, v16, v137 row_newbcast:5 row_mask:0xf bank_mask:0xf// 000000007E7C: 0B1312FA FF015510
	v_mul_f32_dpp v138, v16, v138 row_newbcast:6 row_mask:0xf bank_mask:0xf// 000000007E84: 0B1514FA FF015610
	v_mul_f32_dpp v139, v16, v139 row_newbcast:7 row_mask:0xf bank_mask:0xf// 000000007E8C: 0B1716FA FF015710
	v_mul_f32_e32 v140, v15, v140                              // 000000007E94: 0B19190F
	v_mul_f32_e32 v141, v15, v141                              // 000000007E98: 0B1B1B0F
	v_mul_f32_e32 v142, v15, v142                              // 000000007E9C: 0B1D1D0F
	v_mul_f32_e32 v143, v15, v143                              // 000000007EA0: 0B1F1F0F
	v_mul_f32_dpp v140, v16, v140 row_newbcast:4 row_mask:0xf bank_mask:0xf// 000000007EA4: 0B1918FA FF015410
	v_mul_f32_dpp v141, v16, v141 row_newbcast:5 row_mask:0xf bank_mask:0xf// 000000007EAC: 0B1B1AFA FF015510
	v_mul_f32_dpp v142, v16, v142 row_newbcast:6 row_mask:0xf bank_mask:0xf// 000000007EB4: 0B1D1CFA FF015610
	v_mul_f32_dpp v143, v16, v143 row_newbcast:7 row_mask:0xf bank_mask:0xf// 000000007EBC: 0B1F1EFA FF015710
	v_mul_f32_e32 v144, v14, v144                              // 000000007EC4: 0B21210E
	v_mul_f32_e32 v145, v14, v145                              // 000000007EC8: 0B23230E
	v_mul_f32_e32 v146, v14, v146                              // 000000007ECC: 0B25250E
	v_mul_f32_e32 v147, v14, v147                              // 000000007ED0: 0B27270E
	v_mul_f32_dpp v144, v16, v144 row_newbcast:8 row_mask:0xf bank_mask:0xf// 000000007ED4: 0B2120FA FF015810
	v_mul_f32_dpp v145, v16, v145 row_newbcast:9 row_mask:0xf bank_mask:0xf// 000000007EDC: 0B2322FA FF015910
	v_mul_f32_dpp v146, v16, v146 row_newbcast:10 row_mask:0xf bank_mask:0xf// 000000007EE4: 0B2524FA FF015A10
	v_mul_f32_dpp v147, v16, v147 row_newbcast:11 row_mask:0xf bank_mask:0xf// 000000007EEC: 0B2726FA FF015B10
	v_mul_f32_e32 v148, v15, v148                              // 000000007EF4: 0B29290F
	v_mul_f32_e32 v149, v15, v149                              // 000000007EF8: 0B2B2B0F
	v_mul_f32_e32 v150, v15, v150                              // 000000007EFC: 0B2D2D0F
	v_mul_f32_e32 v151, v15, v151                              // 000000007F00: 0B2F2F0F
	v_mul_f32_dpp v148, v16, v148 row_newbcast:8 row_mask:0xf bank_mask:0xf// 000000007F04: 0B2928FA FF015810
	v_mul_f32_dpp v149, v16, v149 row_newbcast:9 row_mask:0xf bank_mask:0xf// 000000007F0C: 0B2B2AFA FF015910
	v_mul_f32_dpp v150, v16, v150 row_newbcast:10 row_mask:0xf bank_mask:0xf// 000000007F14: 0B2D2CFA FF015A10
	v_mul_f32_dpp v151, v16, v151 row_newbcast:11 row_mask:0xf bank_mask:0xf// 000000007F1C: 0B2F2EFA FF015B10
	v_mul_f32_e32 v152, v14, v152                              // 000000007F24: 0B31310E
	v_mul_f32_e32 v153, v14, v153                              // 000000007F28: 0B33330E
	v_mul_f32_e32 v154, v14, v154                              // 000000007F2C: 0B35350E
	v_mul_f32_e32 v155, v14, v155                              // 000000007F30: 0B37370E
	v_mul_f32_dpp v152, v16, v152 row_newbcast:12 row_mask:0xf bank_mask:0xf// 000000007F34: 0B3130FA FF015C10
	v_mul_f32_dpp v153, v16, v153 row_newbcast:13 row_mask:0xf bank_mask:0xf// 000000007F3C: 0B3332FA FF015D10
	v_mul_f32_dpp v154, v16, v154 row_newbcast:14 row_mask:0xf bank_mask:0xf// 000000007F44: 0B3534FA FF015E10
	v_mul_f32_dpp v155, v16, v155 row_newbcast:15 row_mask:0xf bank_mask:0xf// 000000007F4C: 0B3736FA FF015F10
	v_mul_f32_e32 v156, v15, v156                              // 000000007F54: 0B39390F
	v_mul_f32_e32 v157, v15, v157                              // 000000007F58: 0B3B3B0F
	v_mul_f32_e32 v158, v15, v158                              // 000000007F5C: 0B3D3D0F
	v_mul_f32_e32 v159, v15, v159                              // 000000007F60: 0B3F3F0F
	v_mul_f32_dpp v156, v16, v156 row_newbcast:12 row_mask:0xf bank_mask:0xf// 000000007F64: 0B3938FA FF015C10
	v_mul_f32_dpp v157, v16, v157 row_newbcast:13 row_mask:0xf bank_mask:0xf// 000000007F6C: 0B3B3AFA FF015D10
	v_mul_f32_dpp v158, v16, v158 row_newbcast:14 row_mask:0xf bank_mask:0xf// 000000007F74: 0B3D3CFA FF015E10
	v_mul_f32_dpp v159, v16, v159 row_newbcast:15 row_mask:0xf bank_mask:0xf// 000000007F7C: 0B3F3EFA FF015F10
	v_mul_f32_e32 v160, v14, v160                              // 000000007F84: 0B41410E
	v_mul_f32_e32 v161, v14, v161                              // 000000007F88: 0B43430E
	v_mul_f32_e32 v162, v14, v162                              // 000000007F8C: 0B45450E
	v_mul_f32_e32 v163, v14, v163                              // 000000007F90: 0B47470E
	v_mul_f32_dpp v160, v17, v160 row_newbcast:0 row_mask:0xf bank_mask:0xf// 000000007F94: 0B4140FA FF015011
	v_mul_f32_dpp v161, v17, v161 row_newbcast:1 row_mask:0xf bank_mask:0xf// 000000007F9C: 0B4342FA FF015111
	v_mul_f32_dpp v162, v17, v162 row_newbcast:2 row_mask:0xf bank_mask:0xf// 000000007FA4: 0B4544FA FF015211
	v_mul_f32_dpp v163, v17, v163 row_newbcast:3 row_mask:0xf bank_mask:0xf// 000000007FAC: 0B4746FA FF015311
	v_mul_f32_e32 v164, v15, v164                              // 000000007FB4: 0B49490F
	v_mul_f32_e32 v165, v15, v165                              // 000000007FB8: 0B4B4B0F
	v_mul_f32_e32 v166, v15, v166                              // 000000007FBC: 0B4D4D0F
	v_mul_f32_e32 v167, v15, v167                              // 000000007FC0: 0B4F4F0F
	v_mul_f32_dpp v164, v17, v164 row_newbcast:0 row_mask:0xf bank_mask:0xf// 000000007FC4: 0B4948FA FF015011
	v_mul_f32_dpp v165, v17, v165 row_newbcast:1 row_mask:0xf bank_mask:0xf// 000000007FCC: 0B4B4AFA FF015111
	v_mul_f32_dpp v166, v17, v166 row_newbcast:2 row_mask:0xf bank_mask:0xf// 000000007FD4: 0B4D4CFA FF015211
	v_mul_f32_dpp v167, v17, v167 row_newbcast:3 row_mask:0xf bank_mask:0xf// 000000007FDC: 0B4F4EFA FF015311
	v_mul_f32_e32 v64, v14, v64                                // 000000007FE4: 0A80810E
	v_mul_f32_e32 v65, v14, v65                                // 000000007FE8: 0A82830E
	v_mul_f32_e32 v66, v14, v66                                // 000000007FEC: 0A84850E
	v_mul_f32_e32 v67, v14, v67                                // 000000007FF0: 0A86870E
	v_mul_f32_dpp v64, v47, v64 row_newbcast:0 row_mask:0xf bank_mask:0xf// 000000007FF4: 0A8080FA FF01502F
	v_mul_f32_dpp v65, v47, v65 row_newbcast:1 row_mask:0xf bank_mask:0xf// 000000007FFC: 0A8282FA FF01512F
	v_mul_f32_dpp v66, v47, v66 row_newbcast:2 row_mask:0xf bank_mask:0xf// 000000008004: 0A8484FA FF01522F
	v_mul_f32_dpp v67, v47, v67 row_newbcast:3 row_mask:0xf bank_mask:0xf// 00000000800C: 0A8686FA FF01532F
	v_mul_f32_e32 v68, v15, v68                                // 000000008014: 0A88890F
	v_mul_f32_e32 v69, v15, v69                                // 000000008018: 0A8A8B0F
	v_mul_f32_e32 v70, v15, v70                                // 00000000801C: 0A8C8D0F
	v_mul_f32_e32 v71, v15, v71                                // 000000008020: 0A8E8F0F
	v_mul_f32_dpp v68, v47, v68 row_newbcast:0 row_mask:0xf bank_mask:0xf// 000000008024: 0A8888FA FF01502F
	v_mul_f32_dpp v69, v47, v69 row_newbcast:1 row_mask:0xf bank_mask:0xf// 00000000802C: 0A8A8AFA FF01512F
	v_mul_f32_dpp v70, v47, v70 row_newbcast:2 row_mask:0xf bank_mask:0xf// 000000008034: 0A8C8CFA FF01522F
	v_mul_f32_dpp v71, v47, v71 row_newbcast:3 row_mask:0xf bank_mask:0xf// 00000000803C: 0A8E8EFA FF01532F
	v_mul_f32_e32 v72, v14, v72                                // 000000008044: 0A90910E
	v_mul_f32_e32 v73, v14, v73                                // 000000008048: 0A92930E
	v_mul_f32_e32 v74, v14, v74                                // 00000000804C: 0A94950E
	v_mul_f32_e32 v75, v14, v75                                // 000000008050: 0A96970E
	v_mul_f32_dpp v72, v47, v72 row_newbcast:4 row_mask:0xf bank_mask:0xf// 000000008054: 0A9090FA FF01542F
	v_mul_f32_dpp v73, v47, v73 row_newbcast:5 row_mask:0xf bank_mask:0xf// 00000000805C: 0A9292FA FF01552F
	v_mul_f32_dpp v74, v47, v74 row_newbcast:6 row_mask:0xf bank_mask:0xf// 000000008064: 0A9494FA FF01562F
	v_mul_f32_dpp v75, v47, v75 row_newbcast:7 row_mask:0xf bank_mask:0xf// 00000000806C: 0A9696FA FF01572F
	v_mul_f32_e32 v76, v15, v76                                // 000000008074: 0A98990F
	v_mul_f32_e32 v77, v15, v77                                // 000000008078: 0A9A9B0F
	v_mul_f32_e32 v78, v15, v78                                // 00000000807C: 0A9C9D0F
	v_mul_f32_e32 v79, v15, v79                                // 000000008080: 0A9E9F0F
	v_mul_f32_dpp v76, v47, v76 row_newbcast:4 row_mask:0xf bank_mask:0xf// 000000008084: 0A9898FA FF01542F
	v_mul_f32_dpp v77, v47, v77 row_newbcast:5 row_mask:0xf bank_mask:0xf// 00000000808C: 0A9A9AFA FF01552F
	v_mul_f32_dpp v78, v47, v78 row_newbcast:6 row_mask:0xf bank_mask:0xf// 000000008094: 0A9C9CFA FF01562F
	v_mul_f32_dpp v79, v47, v79 row_newbcast:7 row_mask:0xf bank_mask:0xf// 00000000809C: 0A9E9EFA FF01572F
	v_mul_f32_e32 v80, v14, v80                                // 0000000080A4: 0AA0A10E
	v_mul_f32_e32 v81, v14, v81                                // 0000000080A8: 0AA2A30E
	v_mul_f32_e32 v82, v14, v82                                // 0000000080AC: 0AA4A50E
	v_mul_f32_e32 v83, v14, v83                                // 0000000080B0: 0AA6A70E
	v_mul_f32_dpp v80, v47, v80 row_newbcast:8 row_mask:0xf bank_mask:0xf// 0000000080B4: 0AA0A0FA FF01582F
	v_mul_f32_dpp v81, v47, v81 row_newbcast:9 row_mask:0xf bank_mask:0xf// 0000000080BC: 0AA2A2FA FF01592F
	v_mul_f32_dpp v82, v47, v82 row_newbcast:10 row_mask:0xf bank_mask:0xf// 0000000080C4: 0AA4A4FA FF015A2F
	v_mul_f32_dpp v83, v47, v83 row_newbcast:11 row_mask:0xf bank_mask:0xf// 0000000080CC: 0AA6A6FA FF015B2F
	v_mul_f32_e32 v84, v15, v84                                // 0000000080D4: 0AA8A90F
	v_mul_f32_e32 v85, v15, v85                                // 0000000080D8: 0AAAAB0F
	v_mul_f32_e32 v86, v15, v86                                // 0000000080DC: 0AACAD0F
	v_mul_f32_e32 v87, v15, v87                                // 0000000080E0: 0AAEAF0F
	v_mul_f32_dpp v84, v47, v84 row_newbcast:8 row_mask:0xf bank_mask:0xf// 0000000080E4: 0AA8A8FA FF01582F
	v_mul_f32_dpp v85, v47, v85 row_newbcast:9 row_mask:0xf bank_mask:0xf// 0000000080EC: 0AAAAAFA FF01592F
	v_mul_f32_dpp v86, v47, v86 row_newbcast:10 row_mask:0xf bank_mask:0xf// 0000000080F4: 0AACACFA FF015A2F
	v_mul_f32_dpp v87, v47, v87 row_newbcast:11 row_mask:0xf bank_mask:0xf// 0000000080FC: 0AAEAEFA FF015B2F
	v_mul_f32_e32 v88, v14, v88                                // 000000008104: 0AB0B10E
	v_mul_f32_e32 v89, v14, v89                                // 000000008108: 0AB2B30E
	v_mul_f32_e32 v90, v14, v90                                // 00000000810C: 0AB4B50E
	v_mul_f32_e32 v91, v14, v91                                // 000000008110: 0AB6B70E
	v_mul_f32_dpp v88, v47, v88 row_newbcast:12 row_mask:0xf bank_mask:0xf// 000000008114: 0AB0B0FA FF015C2F
	v_mul_f32_dpp v89, v47, v89 row_newbcast:13 row_mask:0xf bank_mask:0xf// 00000000811C: 0AB2B2FA FF015D2F
	v_mul_f32_dpp v90, v47, v90 row_newbcast:14 row_mask:0xf bank_mask:0xf// 000000008124: 0AB4B4FA FF015E2F
	v_mul_f32_dpp v91, v47, v91 row_newbcast:15 row_mask:0xf bank_mask:0xf// 00000000812C: 0AB6B6FA FF015F2F
	v_mul_f32_e32 v92, v15, v92                                // 000000008134: 0AB8B90F
	v_mul_f32_e32 v93, v15, v93                                // 000000008138: 0ABABB0F
	v_mul_f32_e32 v94, v15, v94                                // 00000000813C: 0ABCBD0F
	v_mul_f32_e32 v95, v15, v95                                // 000000008140: 0ABEBF0F
	v_mul_f32_dpp v92, v47, v92 row_newbcast:12 row_mask:0xf bank_mask:0xf// 000000008144: 0AB8B8FA FF015C2F
	v_mul_f32_dpp v93, v47, v93 row_newbcast:13 row_mask:0xf bank_mask:0xf// 00000000814C: 0ABABAFA FF015D2F
	v_mul_f32_dpp v94, v47, v94 row_newbcast:14 row_mask:0xf bank_mask:0xf// 000000008154: 0ABCBCFA FF015E2F
	v_mul_f32_dpp v95, v47, v95 row_newbcast:15 row_mask:0xf bank_mask:0xf// 00000000815C: 0ABEBEFA FF015F2F
	v_mul_f32_e32 v96, v14, v96                                // 000000008164: 0AC0C10E
	v_mul_f32_e32 v97, v14, v97                                // 000000008168: 0AC2C30E
	v_mul_f32_e32 v98, v14, v98                                // 00000000816C: 0AC4C50E
	v_mul_f32_e32 v99, v14, v99                                // 000000008170: 0AC6C70E
	v_mul_f32_dpp v96, v48, v96 row_newbcast:0 row_mask:0xf bank_mask:0xf// 000000008174: 0AC0C0FA FF015030
	v_mul_f32_dpp v97, v48, v97 row_newbcast:1 row_mask:0xf bank_mask:0xf// 00000000817C: 0AC2C2FA FF015130
	v_mul_f32_dpp v98, v48, v98 row_newbcast:2 row_mask:0xf bank_mask:0xf// 000000008184: 0AC4C4FA FF015230
	v_mul_f32_dpp v99, v48, v99 row_newbcast:3 row_mask:0xf bank_mask:0xf// 00000000818C: 0AC6C6FA FF015330
	v_mul_f32_e32 v100, v15, v100                              // 000000008194: 0AC8C90F
	v_mul_f32_e32 v101, v15, v101                              // 000000008198: 0ACACB0F
	v_mul_f32_e32 v102, v15, v102                              // 00000000819C: 0ACCCD0F
	v_mul_f32_e32 v103, v15, v103                              // 0000000081A0: 0ACECF0F
	v_mul_f32_dpp v100, v48, v100 row_newbcast:0 row_mask:0xf bank_mask:0xf// 0000000081A4: 0AC8C8FA FF015030
	v_mul_f32_dpp v101, v48, v101 row_newbcast:1 row_mask:0xf bank_mask:0xf// 0000000081AC: 0ACACAFA FF015130
	v_mul_f32_dpp v102, v48, v102 row_newbcast:2 row_mask:0xf bank_mask:0xf// 0000000081B4: 0ACCCCFA FF015230
	v_mul_f32_dpp v103, v48, v103 row_newbcast:3 row_mask:0xf bank_mask:0xf// 0000000081BC: 0ACECEFA FF015330
	s_waitcnt vmcnt(16)                                        // 0000000081C4: BF8C4F70
	buffer_load_dwordx4 a[0:3], v39, s[12:15], 0 offen         // 0000000081C8: E05C1000 80830027
	v_mul_f32_e32 v50, v128, v128                              // 0000000081D0: 0A650180
	v_mul_f32_e32 v51, v129, v129                              // 0000000081D4: 0A670381
	v_mul_f32_e32 v52, v130, v130                              // 0000000081D8: 0A690582
	v_mul_f32_e32 v53, v131, v131                              // 0000000081DC: 0A6B0783
	v_fma_f32 v50, v50, s77, v1                                // 0000000081E0: D1CB0032 04049B32
	v_fma_f32 v51, v51, s77, v1                                // 0000000081E8: D1CB0033 04049B33
	v_fma_f32 v52, v52, s77, v1                                // 0000000081F0: D1CB0034 04049B34
	v_fma_f32 v53, v53, s77, v1                                // 0000000081F8: D1CB0035 04049B35
	v_mul_f32_e32 v50, v50, v128                               // 000000008200: 0A650132
	v_mul_f32_e32 v51, v51, v129                               // 000000008204: 0A670333
	v_mul_f32_e32 v52, v52, v130                               // 000000008208: 0A690534
	v_mul_f32_e32 v53, v53, v131                               // 00000000820C: 0A6B0735
	v_mul_f32_e64 v50, v50, s6                                 // 000000008210: D1050032 00000D32
	v_mul_f32_e64 v51, v51, s6                                 // 000000008218: D1050033 00000D33
	v_mul_f32_e64 v52, v52, s6                                 // 000000008220: D1050034 00000D34
	v_mul_f32_e64 v53, v53, s6                                 // 000000008228: D1050035 00000D35
	v_exp_f32_e32 v50, v50                                     // 000000008230: 7E644132
	v_exp_f32_e32 v51, v51                                     // 000000008234: 7E664133
	v_exp_f32_e32 v52, v52                                     // 000000008238: 7E684134
	v_exp_f32_e32 v53, v53                                     // 00000000823C: 7E6A4135
	buffer_load_dwordx4 a[4:7], v40, s[12:15], 0 offen         // 000000008240: E05C1000 80830428
	v_add_f32_e64 v50, v50, 1.0                                // 000000008248: D1010032 0001E532
	v_add_f32_e64 v51, v51, 1.0                                // 000000008250: D1010033 0001E533
	v_add_f32_e64 v52, v52, 1.0                                // 000000008258: D1010034 0001E534
	v_add_f32_e64 v53, v53, 1.0                                // 000000008260: D1010035 0001E535
	v_rcp_f32_e32 v50, v50                                     // 000000008268: 7E644532
	v_rcp_f32_e32 v51, v51                                     // 00000000826C: 7E664533
	v_rcp_f32_e32 v52, v52                                     // 000000008270: 7E684534
	v_rcp_f32_e32 v53, v53                                     // 000000008274: 7E6A4535
	v_mul_f32_e32 v128, v128, v50                              // 000000008278: 0B006580
	v_mul_f32_e32 v129, v129, v51                              // 00000000827C: 0B026781
	v_mul_f32_e32 v130, v130, v52                              // 000000008280: 0B046982
	v_mul_f32_e32 v131, v131, v53                              // 000000008284: 0B066B83
	v_mul_f32_e32 v128, v128, v64                              // 000000008288: 0B008180
	v_mul_f32_e32 v129, v129, v65                              // 00000000828C: 0B028381
	v_mul_f32_e32 v130, v130, v66                              // 000000008290: 0B048582
	v_mul_f32_e32 v131, v131, v67                              // 000000008294: 0B068783
	buffer_load_dwordx4 a[8:11], v41, s[12:15], 0 offen        // 000000008298: E05C1000 80830829
	v_mul_f32_e32 v50, v132, v132                              // 0000000082A0: 0A650984
	v_mul_f32_e32 v51, v133, v133                              // 0000000082A4: 0A670B85
	v_mul_f32_e32 v52, v134, v134                              // 0000000082A8: 0A690D86
	v_mul_f32_e32 v53, v135, v135                              // 0000000082AC: 0A6B0F87
	v_fma_f32 v50, v50, s77, v1                                // 0000000082B0: D1CB0032 04049B32
	v_fma_f32 v51, v51, s77, v1                                // 0000000082B8: D1CB0033 04049B33
	v_fma_f32 v52, v52, s77, v1                                // 0000000082C0: D1CB0034 04049B34
	v_fma_f32 v53, v53, s77, v1                                // 0000000082C8: D1CB0035 04049B35
	v_mul_f32_e32 v50, v50, v132                               // 0000000082D0: 0A650932
	v_mul_f32_e32 v51, v51, v133                               // 0000000082D4: 0A670B33
	v_mul_f32_e32 v52, v52, v134                               // 0000000082D8: 0A690D34
	v_mul_f32_e32 v53, v53, v135                               // 0000000082DC: 0A6B0F35
	v_mul_f32_e64 v50, v50, s6                                 // 0000000082E0: D1050032 00000D32
	v_mul_f32_e64 v51, v51, s6                                 // 0000000082E8: D1050033 00000D33
	v_mul_f32_e64 v52, v52, s6                                 // 0000000082F0: D1050034 00000D34
	v_mul_f32_e64 v53, v53, s6                                 // 0000000082F8: D1050035 00000D35
	v_exp_f32_e32 v50, v50                                     // 000000008300: 7E644132
	v_exp_f32_e32 v51, v51                                     // 000000008304: 7E664133
	v_exp_f32_e32 v52, v52                                     // 000000008308: 7E684134
	v_exp_f32_e32 v53, v53                                     // 00000000830C: 7E6A4135
	buffer_load_dwordx4 a[12:15], v42, s[12:15], 0 offen       // 000000008310: E05C1000 80830C2A
	s_add_u32 s12, s78, s12                                    // 000000008318: 800C0C4E
	s_addc_u32 s13, 0, s13                                     // 00000000831C: 820D0D80
	v_add_f32_e64 v50, v50, 1.0                                // 000000008320: D1010032 0001E532
	v_add_f32_e64 v51, v51, 1.0                                // 000000008328: D1010033 0001E533
	v_add_f32_e64 v52, v52, 1.0                                // 000000008330: D1010034 0001E534
	v_add_f32_e64 v53, v53, 1.0                                // 000000008338: D1010035 0001E535
	v_rcp_f32_e32 v50, v50                                     // 000000008340: 7E644532
	v_rcp_f32_e32 v51, v51                                     // 000000008344: 7E664533
	v_rcp_f32_e32 v52, v52                                     // 000000008348: 7E684534
	v_rcp_f32_e32 v53, v53                                     // 00000000834C: 7E6A4535
	v_mul_f32_e32 v132, v132, v50                              // 000000008350: 0B086584
	v_mul_f32_e32 v133, v133, v51                              // 000000008354: 0B0A6785
	v_mul_f32_e32 v134, v134, v52                              // 000000008358: 0B0C6986
	v_mul_f32_e32 v135, v135, v53                              // 00000000835C: 0B0E6B87
	v_mul_f32_e32 v132, v132, v68                              // 000000008360: 0B088984
	v_mul_f32_e32 v133, v133, v69                              // 000000008364: 0B0A8B85
	v_mul_f32_e32 v134, v134, v70                              // 000000008368: 0B0C8D86
	v_mul_f32_e32 v135, v135, v71                              // 00000000836C: 0B0E8F87
	s_waitcnt vmcnt(16)                                        // 000000008370: BF8C4F70
	buffer_load_dwordx4 a[16:19], v39, s[12:15], 0 offen       // 000000008374: E05C1000 80831027
	v_mul_f32_e32 v50, v136, v136                              // 00000000837C: 0A651188
	v_mul_f32_e32 v51, v137, v137                              // 000000008380: 0A671389
	v_mul_f32_e32 v52, v138, v138                              // 000000008384: 0A69158A
	v_mul_f32_e32 v53, v139, v139                              // 000000008388: 0A6B178B
	v_fma_f32 v50, v50, s77, v1                                // 00000000838C: D1CB0032 04049B32
	v_fma_f32 v51, v51, s77, v1                                // 000000008394: D1CB0033 04049B33
	v_fma_f32 v52, v52, s77, v1                                // 00000000839C: D1CB0034 04049B34
	v_fma_f32 v53, v53, s77, v1                                // 0000000083A4: D1CB0035 04049B35
	v_mul_f32_e32 v50, v50, v136                               // 0000000083AC: 0A651132
	v_mul_f32_e32 v51, v51, v137                               // 0000000083B0: 0A671333
	v_mul_f32_e32 v52, v52, v138                               // 0000000083B4: 0A691534
	v_mul_f32_e32 v53, v53, v139                               // 0000000083B8: 0A6B1735
	v_mul_f32_e64 v50, v50, s6                                 // 0000000083BC: D1050032 00000D32
	v_mul_f32_e64 v51, v51, s6                                 // 0000000083C4: D1050033 00000D33
	v_mul_f32_e64 v52, v52, s6                                 // 0000000083CC: D1050034 00000D34
	v_mul_f32_e64 v53, v53, s6                                 // 0000000083D4: D1050035 00000D35
	v_exp_f32_e32 v50, v50                                     // 0000000083DC: 7E644132
	v_exp_f32_e32 v51, v51                                     // 0000000083E0: 7E664133
	v_exp_f32_e32 v52, v52                                     // 0000000083E4: 7E684134
	v_exp_f32_e32 v53, v53                                     // 0000000083E8: 7E6A4135
	buffer_load_dwordx4 a[20:23], v40, s[12:15], 0 offen       // 0000000083EC: E05C1000 80831428
	v_add_f32_e64 v50, v50, 1.0                                // 0000000083F4: D1010032 0001E532
	v_add_f32_e64 v51, v51, 1.0                                // 0000000083FC: D1010033 0001E533
	v_add_f32_e64 v52, v52, 1.0                                // 000000008404: D1010034 0001E534
	v_add_f32_e64 v53, v53, 1.0                                // 00000000840C: D1010035 0001E535
	v_rcp_f32_e32 v50, v50                                     // 000000008414: 7E644532
	v_rcp_f32_e32 v51, v51                                     // 000000008418: 7E664533
	v_rcp_f32_e32 v52, v52                                     // 00000000841C: 7E684534
	v_rcp_f32_e32 v53, v53                                     // 000000008420: 7E6A4535
	v_mul_f32_e32 v136, v136, v50                              // 000000008424: 0B106588
	v_mul_f32_e32 v137, v137, v51                              // 000000008428: 0B126789
	v_mul_f32_e32 v138, v138, v52                              // 00000000842C: 0B14698A
	v_mul_f32_e32 v139, v139, v53                              // 000000008430: 0B166B8B
	v_mul_f32_e32 v136, v136, v72                              // 000000008434: 0B109188
	v_mul_f32_e32 v137, v137, v73                              // 000000008438: 0B129389
	v_mul_f32_e32 v138, v138, v74                              // 00000000843C: 0B14958A
	v_mul_f32_e32 v139, v139, v75                              // 000000008440: 0B16978B
	buffer_load_dwordx4 a[24:27], v41, s[12:15], 0 offen       // 000000008444: E05C1000 80831829
	v_mul_f32_e32 v50, v140, v140                              // 00000000844C: 0A65198C
	v_mul_f32_e32 v51, v141, v141                              // 000000008450: 0A671B8D
	v_mul_f32_e32 v52, v142, v142                              // 000000008454: 0A691D8E
	v_mul_f32_e32 v53, v143, v143                              // 000000008458: 0A6B1F8F
	v_fma_f32 v50, v50, s77, v1                                // 00000000845C: D1CB0032 04049B32
	v_fma_f32 v51, v51, s77, v1                                // 000000008464: D1CB0033 04049B33
	v_fma_f32 v52, v52, s77, v1                                // 00000000846C: D1CB0034 04049B34
	v_fma_f32 v53, v53, s77, v1                                // 000000008474: D1CB0035 04049B35
	v_mul_f32_e32 v50, v50, v140                               // 00000000847C: 0A651932
	v_mul_f32_e32 v51, v51, v141                               // 000000008480: 0A671B33
	v_mul_f32_e32 v52, v52, v142                               // 000000008484: 0A691D34
	v_mul_f32_e32 v53, v53, v143                               // 000000008488: 0A6B1F35
	v_mul_f32_e64 v50, v50, s6                                 // 00000000848C: D1050032 00000D32
	v_mul_f32_e64 v51, v51, s6                                 // 000000008494: D1050033 00000D33
	v_mul_f32_e64 v52, v52, s6                                 // 00000000849C: D1050034 00000D34
	v_mul_f32_e64 v53, v53, s6                                 // 0000000084A4: D1050035 00000D35
	v_exp_f32_e32 v50, v50                                     // 0000000084AC: 7E644132
	v_exp_f32_e32 v51, v51                                     // 0000000084B0: 7E664133
	v_exp_f32_e32 v52, v52                                     // 0000000084B4: 7E684134
	v_exp_f32_e32 v53, v53                                     // 0000000084B8: 7E6A4135
	buffer_load_dwordx4 a[28:31], v42, s[12:15], 0 offen       // 0000000084BC: E05C1000 80831C2A
	s_add_u32 s12, s78, s12                                    // 0000000084C4: 800C0C4E
	s_addc_u32 s13, 0, s13                                     // 0000000084C8: 820D0D80
	v_add_f32_e64 v50, v50, 1.0                                // 0000000084CC: D1010032 0001E532
	v_add_f32_e64 v51, v51, 1.0                                // 0000000084D4: D1010033 0001E533
	v_add_f32_e64 v52, v52, 1.0                                // 0000000084DC: D1010034 0001E534
	v_add_f32_e64 v53, v53, 1.0                                // 0000000084E4: D1010035 0001E535
	v_rcp_f32_e32 v50, v50                                     // 0000000084EC: 7E644532
	v_rcp_f32_e32 v51, v51                                     // 0000000084F0: 7E664533
	v_rcp_f32_e32 v52, v52                                     // 0000000084F4: 7E684534
	v_rcp_f32_e32 v53, v53                                     // 0000000084F8: 7E6A4535
	v_mul_f32_e32 v140, v140, v50                              // 0000000084FC: 0B18658C
	v_mul_f32_e32 v141, v141, v51                              // 000000008500: 0B1A678D
	v_mul_f32_e32 v142, v142, v52                              // 000000008504: 0B1C698E
	v_mul_f32_e32 v143, v143, v53                              // 000000008508: 0B1E6B8F
	v_mul_f32_e32 v140, v140, v76                              // 00000000850C: 0B18998C
	v_mul_f32_e32 v141, v141, v77                              // 000000008510: 0B1A9B8D
	v_mul_f32_e32 v142, v142, v78                              // 000000008514: 0B1C9D8E
	v_mul_f32_e32 v143, v143, v79                              // 000000008518: 0B1E9F8F
	s_waitcnt vmcnt(16)                                        // 00000000851C: BF8C4F70
	buffer_load_dwordx4 a[32:35], v39, s[12:15], 0 offen       // 000000008520: E05C1000 80832027
	v_mul_f32_e32 v50, v144, v144                              // 000000008528: 0A652190
	v_mul_f32_e32 v51, v145, v145                              // 00000000852C: 0A672391
	v_mul_f32_e32 v52, v146, v146                              // 000000008530: 0A692592
	v_mul_f32_e32 v53, v147, v147                              // 000000008534: 0A6B2793
	v_fma_f32 v50, v50, s77, v1                                // 000000008538: D1CB0032 04049B32
	v_fma_f32 v51, v51, s77, v1                                // 000000008540: D1CB0033 04049B33
	v_fma_f32 v52, v52, s77, v1                                // 000000008548: D1CB0034 04049B34
	v_fma_f32 v53, v53, s77, v1                                // 000000008550: D1CB0035 04049B35
	v_mul_f32_e32 v50, v50, v144                               // 000000008558: 0A652132
	v_mul_f32_e32 v51, v51, v145                               // 00000000855C: 0A672333
	v_mul_f32_e32 v52, v52, v146                               // 000000008560: 0A692534
	v_mul_f32_e32 v53, v53, v147                               // 000000008564: 0A6B2735
	v_mul_f32_e64 v50, v50, s6                                 // 000000008568: D1050032 00000D32
	v_mul_f32_e64 v51, v51, s6                                 // 000000008570: D1050033 00000D33
	v_mul_f32_e64 v52, v52, s6                                 // 000000008578: D1050034 00000D34
	v_mul_f32_e64 v53, v53, s6                                 // 000000008580: D1050035 00000D35
	v_exp_f32_e32 v50, v50                                     // 000000008588: 7E644132
	v_exp_f32_e32 v51, v51                                     // 00000000858C: 7E664133
	v_exp_f32_e32 v52, v52                                     // 000000008590: 7E684134
	v_exp_f32_e32 v53, v53                                     // 000000008594: 7E6A4135
	buffer_load_dwordx4 a[36:39], v40, s[12:15], 0 offen       // 000000008598: E05C1000 80832428
	v_add_f32_e64 v50, v50, 1.0                                // 0000000085A0: D1010032 0001E532
	v_add_f32_e64 v51, v51, 1.0                                // 0000000085A8: D1010033 0001E533
	v_add_f32_e64 v52, v52, 1.0                                // 0000000085B0: D1010034 0001E534
	v_add_f32_e64 v53, v53, 1.0                                // 0000000085B8: D1010035 0001E535
	v_rcp_f32_e32 v50, v50                                     // 0000000085C0: 7E644532
	v_rcp_f32_e32 v51, v51                                     // 0000000085C4: 7E664533
	v_rcp_f32_e32 v52, v52                                     // 0000000085C8: 7E684534
	v_rcp_f32_e32 v53, v53                                     // 0000000085CC: 7E6A4535
	v_mul_f32_e32 v144, v144, v50                              // 0000000085D0: 0B206590
	v_mul_f32_e32 v145, v145, v51                              // 0000000085D4: 0B226791
	v_mul_f32_e32 v146, v146, v52                              // 0000000085D8: 0B246992
	v_mul_f32_e32 v147, v147, v53                              // 0000000085DC: 0B266B93
	v_mul_f32_e32 v144, v144, v80                              // 0000000085E0: 0B20A190
	v_mul_f32_e32 v145, v145, v81                              // 0000000085E4: 0B22A391
	v_mul_f32_e32 v146, v146, v82                              // 0000000085E8: 0B24A592
	v_mul_f32_e32 v147, v147, v83                              // 0000000085EC: 0B26A793
	buffer_load_dwordx4 a[40:43], v41, s[12:15], 0 offen       // 0000000085F0: E05C1000 80832829
	v_mul_f32_e32 v50, v148, v148                              // 0000000085F8: 0A652994
	v_mul_f32_e32 v51, v149, v149                              // 0000000085FC: 0A672B95
	v_mul_f32_e32 v52, v150, v150                              // 000000008600: 0A692D96
	v_mul_f32_e32 v53, v151, v151                              // 000000008604: 0A6B2F97
	v_fma_f32 v50, v50, s77, v1                                // 000000008608: D1CB0032 04049B32
	v_fma_f32 v51, v51, s77, v1                                // 000000008610: D1CB0033 04049B33
	v_fma_f32 v52, v52, s77, v1                                // 000000008618: D1CB0034 04049B34
	v_fma_f32 v53, v53, s77, v1                                // 000000008620: D1CB0035 04049B35
	v_mul_f32_e32 v50, v50, v148                               // 000000008628: 0A652932
	v_mul_f32_e32 v51, v51, v149                               // 00000000862C: 0A672B33
	v_mul_f32_e32 v52, v52, v150                               // 000000008630: 0A692D34
	v_mul_f32_e32 v53, v53, v151                               // 000000008634: 0A6B2F35
	v_mul_f32_e64 v50, v50, s6                                 // 000000008638: D1050032 00000D32
	v_mul_f32_e64 v51, v51, s6                                 // 000000008640: D1050033 00000D33
	v_mul_f32_e64 v52, v52, s6                                 // 000000008648: D1050034 00000D34
	v_mul_f32_e64 v53, v53, s6                                 // 000000008650: D1050035 00000D35
	v_exp_f32_e32 v50, v50                                     // 000000008658: 7E644132
	v_exp_f32_e32 v51, v51                                     // 00000000865C: 7E664133
	v_exp_f32_e32 v52, v52                                     // 000000008660: 7E684134
	v_exp_f32_e32 v53, v53                                     // 000000008664: 7E6A4135
	buffer_load_dwordx4 a[44:47], v42, s[12:15], 0 offen       // 000000008668: E05C1000 80832C2A
	s_add_u32 s12, s78, s12                                    // 000000008670: 800C0C4E
	s_addc_u32 s13, 0, s13                                     // 000000008674: 820D0D80
	v_add_f32_e64 v50, v50, 1.0                                // 000000008678: D1010032 0001E532
	v_add_f32_e64 v51, v51, 1.0                                // 000000008680: D1010033 0001E533
	v_add_f32_e64 v52, v52, 1.0                                // 000000008688: D1010034 0001E534
	v_add_f32_e64 v53, v53, 1.0                                // 000000008690: D1010035 0001E535
	v_rcp_f32_e32 v50, v50                                     // 000000008698: 7E644532
	v_rcp_f32_e32 v51, v51                                     // 00000000869C: 7E664533
	v_rcp_f32_e32 v52, v52                                     // 0000000086A0: 7E684534
	v_rcp_f32_e32 v53, v53                                     // 0000000086A4: 7E6A4535
	v_mul_f32_e32 v148, v148, v50                              // 0000000086A8: 0B286594
	v_mul_f32_e32 v149, v149, v51                              // 0000000086AC: 0B2A6795
	v_mul_f32_e32 v150, v150, v52                              // 0000000086B0: 0B2C6996
	v_mul_f32_e32 v151, v151, v53                              // 0000000086B4: 0B2E6B97
	v_mul_f32_e32 v148, v148, v84                              // 0000000086B8: 0B28A994
	v_mul_f32_e32 v149, v149, v85                              // 0000000086BC: 0B2AAB95
	v_mul_f32_e32 v150, v150, v86                              // 0000000086C0: 0B2CAD96
	v_mul_f32_e32 v151, v151, v87                              // 0000000086C4: 0B2EAF97
	s_waitcnt vmcnt(16)                                        // 0000000086C8: BF8C4F70
	buffer_load_dwordx4 a[48:51], v39, s[12:15], 0 offen       // 0000000086CC: E05C1000 80833027
	v_mul_f32_e32 v50, v152, v152                              // 0000000086D4: 0A653198
	v_mul_f32_e32 v51, v153, v153                              // 0000000086D8: 0A673399
	v_mul_f32_e32 v52, v154, v154                              // 0000000086DC: 0A69359A
	v_mul_f32_e32 v53, v155, v155                              // 0000000086E0: 0A6B379B
	v_fma_f32 v50, v50, s77, v1                                // 0000000086E4: D1CB0032 04049B32
	v_fma_f32 v51, v51, s77, v1                                // 0000000086EC: D1CB0033 04049B33
	v_fma_f32 v52, v52, s77, v1                                // 0000000086F4: D1CB0034 04049B34
	v_fma_f32 v53, v53, s77, v1                                // 0000000086FC: D1CB0035 04049B35
	v_mul_f32_e32 v50, v50, v152                               // 000000008704: 0A653132
	v_mul_f32_e32 v51, v51, v153                               // 000000008708: 0A673333
	v_mul_f32_e32 v52, v52, v154                               // 00000000870C: 0A693534
	v_mul_f32_e32 v53, v53, v155                               // 000000008710: 0A6B3735
	v_mul_f32_e64 v50, v50, s6                                 // 000000008714: D1050032 00000D32
	v_mul_f32_e64 v51, v51, s6                                 // 00000000871C: D1050033 00000D33
	v_mul_f32_e64 v52, v52, s6                                 // 000000008724: D1050034 00000D34
	v_mul_f32_e64 v53, v53, s6                                 // 00000000872C: D1050035 00000D35
	v_exp_f32_e32 v50, v50                                     // 000000008734: 7E644132
	v_exp_f32_e32 v51, v51                                     // 000000008738: 7E664133
	v_exp_f32_e32 v52, v52                                     // 00000000873C: 7E684134
	v_exp_f32_e32 v53, v53                                     // 000000008740: 7E6A4135
	buffer_load_dwordx4 a[52:55], v40, s[12:15], 0 offen       // 000000008744: E05C1000 80833428
	v_add_f32_e64 v50, v50, 1.0                                // 00000000874C: D1010032 0001E532
	v_add_f32_e64 v51, v51, 1.0                                // 000000008754: D1010033 0001E533
	v_add_f32_e64 v52, v52, 1.0                                // 00000000875C: D1010034 0001E534
	v_add_f32_e64 v53, v53, 1.0                                // 000000008764: D1010035 0001E535
	v_rcp_f32_e32 v50, v50                                     // 00000000876C: 7E644532
	v_rcp_f32_e32 v51, v51                                     // 000000008770: 7E664533
	v_rcp_f32_e32 v52, v52                                     // 000000008774: 7E684534
	v_rcp_f32_e32 v53, v53                                     // 000000008778: 7E6A4535
	v_mul_f32_e32 v152, v152, v50                              // 00000000877C: 0B306598
	v_mul_f32_e32 v153, v153, v51                              // 000000008780: 0B326799
	v_mul_f32_e32 v154, v154, v52                              // 000000008784: 0B34699A
	v_mul_f32_e32 v155, v155, v53                              // 000000008788: 0B366B9B
	v_mul_f32_e32 v152, v152, v88                              // 00000000878C: 0B30B198
	v_mul_f32_e32 v153, v153, v89                              // 000000008790: 0B32B399
	v_mul_f32_e32 v154, v154, v90                              // 000000008794: 0B34B59A
	v_mul_f32_e32 v155, v155, v91                              // 000000008798: 0B36B79B
	buffer_load_dwordx4 a[56:59], v41, s[12:15], 0 offen       // 00000000879C: E05C1000 80833829
	v_mul_f32_e32 v50, v156, v156                              // 0000000087A4: 0A65399C
	v_mul_f32_e32 v51, v157, v157                              // 0000000087A8: 0A673B9D
	v_mul_f32_e32 v52, v158, v158                              // 0000000087AC: 0A693D9E
	v_mul_f32_e32 v53, v159, v159                              // 0000000087B0: 0A6B3F9F
	v_fma_f32 v50, v50, s77, v1                                // 0000000087B4: D1CB0032 04049B32
	v_fma_f32 v51, v51, s77, v1                                // 0000000087BC: D1CB0033 04049B33
	v_fma_f32 v52, v52, s77, v1                                // 0000000087C4: D1CB0034 04049B34
	v_fma_f32 v53, v53, s77, v1                                // 0000000087CC: D1CB0035 04049B35
	v_mul_f32_e32 v50, v50, v156                               // 0000000087D4: 0A653932
	v_mul_f32_e32 v51, v51, v157                               // 0000000087D8: 0A673B33
	v_mul_f32_e32 v52, v52, v158                               // 0000000087DC: 0A693D34
	v_mul_f32_e32 v53, v53, v159                               // 0000000087E0: 0A6B3F35
	v_mul_f32_e64 v50, v50, s6                                 // 0000000087E4: D1050032 00000D32
	v_mul_f32_e64 v51, v51, s6                                 // 0000000087EC: D1050033 00000D33
	v_mul_f32_e64 v52, v52, s6                                 // 0000000087F4: D1050034 00000D34
	v_mul_f32_e64 v53, v53, s6                                 // 0000000087FC: D1050035 00000D35
	v_exp_f32_e32 v50, v50                                     // 000000008804: 7E644132
	v_exp_f32_e32 v51, v51                                     // 000000008808: 7E664133
	v_exp_f32_e32 v52, v52                                     // 00000000880C: 7E684134
	v_exp_f32_e32 v53, v53                                     // 000000008810: 7E6A4135
	buffer_load_dwordx4 a[60:63], v42, s[12:15], 0 offen       // 000000008814: E05C1000 80833C2A
	s_add_u32 s12, s78, s12                                    // 00000000881C: 800C0C4E
	s_addc_u32 s13, 0, s13                                     // 000000008820: 820D0D80
	v_add_f32_e64 v50, v50, 1.0                                // 000000008824: D1010032 0001E532
	v_add_f32_e64 v51, v51, 1.0                                // 00000000882C: D1010033 0001E533
	v_add_f32_e64 v52, v52, 1.0                                // 000000008834: D1010034 0001E534
	v_add_f32_e64 v53, v53, 1.0                                // 00000000883C: D1010035 0001E535
	v_rcp_f32_e32 v50, v50                                     // 000000008844: 7E644532
	v_rcp_f32_e32 v51, v51                                     // 000000008848: 7E664533
	v_rcp_f32_e32 v52, v52                                     // 00000000884C: 7E684534
	v_rcp_f32_e32 v53, v53                                     // 000000008850: 7E6A4535
	v_mul_f32_e32 v156, v156, v50                              // 000000008854: 0B38659C
	v_mul_f32_e32 v157, v157, v51                              // 000000008858: 0B3A679D
	v_mul_f32_e32 v158, v158, v52                              // 00000000885C: 0B3C699E
	v_mul_f32_e32 v159, v159, v53                              // 000000008860: 0B3E6B9F
	v_mul_f32_e32 v156, v156, v92                              // 000000008864: 0B38B99C
	v_mul_f32_e32 v157, v157, v93                              // 000000008868: 0B3ABB9D
	v_mul_f32_e32 v158, v158, v94                              // 00000000886C: 0B3CBD9E
	v_mul_f32_e32 v159, v159, v95                              // 000000008870: 0B3EBF9F
	s_waitcnt vmcnt(16)                                        // 000000008874: BF8C4F70
	buffer_load_dwordx4 a[64:67], v39, s[12:15], 0 offen       // 000000008878: E05C1000 80834027
	v_mul_f32_e32 v50, v160, v160                              // 000000008880: 0A6541A0
	v_mul_f32_e32 v51, v161, v161                              // 000000008884: 0A6743A1
	v_mul_f32_e32 v52, v162, v162                              // 000000008888: 0A6945A2
	v_mul_f32_e32 v53, v163, v163                              // 00000000888C: 0A6B47A3
	v_fma_f32 v50, v50, s77, v1                                // 000000008890: D1CB0032 04049B32
	v_fma_f32 v51, v51, s77, v1                                // 000000008898: D1CB0033 04049B33
	v_fma_f32 v52, v52, s77, v1                                // 0000000088A0: D1CB0034 04049B34
	v_fma_f32 v53, v53, s77, v1                                // 0000000088A8: D1CB0035 04049B35
	v_mul_f32_e32 v50, v50, v160                               // 0000000088B0: 0A654132
	v_mul_f32_e32 v51, v51, v161                               // 0000000088B4: 0A674333
	v_mul_f32_e32 v52, v52, v162                               // 0000000088B8: 0A694534
	v_mul_f32_e32 v53, v53, v163                               // 0000000088BC: 0A6B4735
	v_mul_f32_e64 v50, v50, s6                                 // 0000000088C0: D1050032 00000D32
	v_mul_f32_e64 v51, v51, s6                                 // 0000000088C8: D1050033 00000D33
	v_mul_f32_e64 v52, v52, s6                                 // 0000000088D0: D1050034 00000D34
	v_mul_f32_e64 v53, v53, s6                                 // 0000000088D8: D1050035 00000D35
	v_exp_f32_e32 v50, v50                                     // 0000000088E0: 7E644132
	v_exp_f32_e32 v51, v51                                     // 0000000088E4: 7E664133
	v_exp_f32_e32 v52, v52                                     // 0000000088E8: 7E684134
	v_exp_f32_e32 v53, v53                                     // 0000000088EC: 7E6A4135
	buffer_load_dwordx4 a[68:71], v40, s[12:15], 0 offen       // 0000000088F0: E05C1000 80834428
	v_add_f32_e64 v50, v50, 1.0                                // 0000000088F8: D1010032 0001E532
	v_add_f32_e64 v51, v51, 1.0                                // 000000008900: D1010033 0001E533
	v_add_f32_e64 v52, v52, 1.0                                // 000000008908: D1010034 0001E534
	v_add_f32_e64 v53, v53, 1.0                                // 000000008910: D1010035 0001E535
	v_rcp_f32_e32 v50, v50                                     // 000000008918: 7E644532
	v_rcp_f32_e32 v51, v51                                     // 00000000891C: 7E664533
	v_rcp_f32_e32 v52, v52                                     // 000000008920: 7E684534
	v_rcp_f32_e32 v53, v53                                     // 000000008924: 7E6A4535
	v_mul_f32_e32 v160, v160, v50                              // 000000008928: 0B4065A0
	v_mul_f32_e32 v161, v161, v51                              // 00000000892C: 0B4267A1
	v_mul_f32_e32 v162, v162, v52                              // 000000008930: 0B4469A2
	v_mul_f32_e32 v163, v163, v53                              // 000000008934: 0B466BA3
	v_mul_f32_e32 v160, v160, v96                              // 000000008938: 0B40C1A0
	v_mul_f32_e32 v161, v161, v97                              // 00000000893C: 0B42C3A1
	v_mul_f32_e32 v162, v162, v98                              // 000000008940: 0B44C5A2
	v_mul_f32_e32 v163, v163, v99                              // 000000008944: 0B46C7A3
	buffer_load_dwordx4 a[72:75], v41, s[12:15], 0 offen       // 000000008948: E05C1000 80834829
	v_mul_f32_e32 v50, v164, v164                              // 000000008950: 0A6549A4
	v_mul_f32_e32 v51, v165, v165                              // 000000008954: 0A674BA5
	v_mul_f32_e32 v52, v166, v166                              // 000000008958: 0A694DA6
	v_mul_f32_e32 v53, v167, v167                              // 00000000895C: 0A6B4FA7
	v_fma_f32 v50, v50, s77, v1                                // 000000008960: D1CB0032 04049B32
	v_fma_f32 v51, v51, s77, v1                                // 000000008968: D1CB0033 04049B33
	v_fma_f32 v52, v52, s77, v1                                // 000000008970: D1CB0034 04049B34
	v_fma_f32 v53, v53, s77, v1                                // 000000008978: D1CB0035 04049B35
	v_mul_f32_e32 v50, v50, v164                               // 000000008980: 0A654932
	v_mul_f32_e32 v51, v51, v165                               // 000000008984: 0A674B33
	v_mul_f32_e32 v52, v52, v166                               // 000000008988: 0A694D34
	v_mul_f32_e32 v53, v53, v167                               // 00000000898C: 0A6B4F35
	v_mul_f32_e64 v50, v50, s6                                 // 000000008990: D1050032 00000D32
	v_mul_f32_e64 v51, v51, s6                                 // 000000008998: D1050033 00000D33
	v_mul_f32_e64 v52, v52, s6                                 // 0000000089A0: D1050034 00000D34
	v_mul_f32_e64 v53, v53, s6                                 // 0000000089A8: D1050035 00000D35
	v_exp_f32_e32 v50, v50                                     // 0000000089B0: 7E644132
	v_exp_f32_e32 v51, v51                                     // 0000000089B4: 7E664133
	v_exp_f32_e32 v52, v52                                     // 0000000089B8: 7E684134
	v_exp_f32_e32 v53, v53                                     // 0000000089BC: 7E6A4135
	buffer_load_dwordx4 a[76:79], v42, s[12:15], 0 offen       // 0000000089C0: E05C1000 80834C2A
	v_add_f32_e64 v50, v50, 1.0                                // 0000000089C8: D1010032 0001E532
	v_add_f32_e64 v51, v51, 1.0                                // 0000000089D0: D1010033 0001E533
	v_add_f32_e64 v52, v52, 1.0                                // 0000000089D8: D1010034 0001E534
	v_add_f32_e64 v53, v53, 1.0                                // 0000000089E0: D1010035 0001E535
	v_rcp_f32_e32 v50, v50                                     // 0000000089E8: 7E644532
	v_rcp_f32_e32 v51, v51                                     // 0000000089EC: 7E664533
	v_rcp_f32_e32 v52, v52                                     // 0000000089F0: 7E684534
	v_rcp_f32_e32 v53, v53                                     // 0000000089F4: 7E6A4535
	v_mul_f32_e32 v164, v164, v50                              // 0000000089F8: 0B4865A4
	v_mul_f32_e32 v165, v165, v51                              // 0000000089FC: 0B4A67A5
	v_mul_f32_e32 v166, v166, v52                              // 000000008A00: 0B4C69A6
	v_mul_f32_e32 v167, v167, v53                              // 000000008A04: 0B4E6BA7
	v_mul_f32_e32 v164, v164, v100                             // 000000008A08: 0B48C9A4
	v_mul_f32_e32 v165, v165, v101                             // 000000008A0C: 0B4ACBA5
	v_mul_f32_e32 v166, v166, v102                             // 000000008A10: 0B4CCDA6
	v_mul_f32_e32 v167, v167, v103                             // 000000008A14: 0B4ECFA7
	v_lshlrev_b32_e32 v50, 2, v0                               // 000000008A18: 24640082
	s_mul_i32 s60, s82, s71                                    // 000000008A1C: 923C4752
	v_add_u32_e64 v80, v50, s60                                // 000000008A20: D1340050 00007932
	v_mov_b32_e32 v81, 0                                       // 000000008A28: 7EA20280
	s_mul_i32 s60, s83, s71                                    // 000000008A2C: 923C4753
	v_add_u32_e64 v82, v50, s60                                // 000000008A30: D1340052 00007932
	v_mov_b32_e32 v83, 0                                       // 000000008A38: 7EA60280
	s_mul_i32 s60, s84, s71                                    // 000000008A3C: 923C4754
	v_add_u32_e64 v84, v50, s60                                // 000000008A40: D1340054 00007932
	v_mov_b32_e32 v85, 0                                       // 000000008A48: 7EAA0280
	s_mul_i32 s60, s85, s71                                    // 000000008A4C: 923C4755
	v_add_u32_e64 v86, v50, s60                                // 000000008A50: D1340056 00007932
	v_mov_b32_e32 v87, 0                                       // 000000008A58: 7EAE0280
	s_mul_i32 s60, s86, s71                                    // 000000008A5C: 923C4756
	v_add_u32_e64 v88, v50, s60                                // 000000008A60: D1340058 00007932
	v_mov_b32_e32 v89, 0                                       // 000000008A68: 7EB20280
	s_mul_i32 s60, s87, s71                                    // 000000008A6C: 923C4757
	v_add_u32_e64 v90, v50, s60                                // 000000008A70: D134005A 00007932
	v_mov_b32_e32 v91, 0                                       // 000000008A78: 7EB60280
	s_mul_i32 s60, s88, s71                                    // 000000008A7C: 923C4758
	v_add_u32_e64 v92, v50, s60                                // 000000008A80: D134005C 00007932
	v_mov_b32_e32 v93, 0                                       // 000000008A88: 7EBA0280
	s_mul_i32 s60, s89, s71                                    // 000000008A8C: 923C4759
	v_add_u32_e64 v94, v50, s60                                // 000000008A90: D134005E 00007932
	v_mov_b32_e32 v95, 0                                       // 000000008A98: 7EBE0280
	buffer_load_dword v12, v5, s[16:19], 0 offen               // 000000008A9C: E0501000 80040C05
	v_mov_b32_e32 v22, 0x358637bd                              // 000000008AA4: 7E2C02FF 358637BD
	v_mov_b32_e32 v23, 0x358637bd                              // 000000008AAC: 7E2E02FF 358637BD
	v_max3_f32 v22, |v128|, |v129|, v22                        // 000000008AB4: D1D30316 045B0380
	v_max3_f32 v22, |v130|, |v131|, v22                        // 000000008ABC: D1D30316 045B0782
	v_max3_f32 v23, |v132|, |v133|, v23                        // 000000008AC4: D1D30317 045F0B84
	v_max3_f32 v23, |v134|, |v135|, v23                        // 000000008ACC: D1D30317 045F0F86
	v_max3_f32 v22, |v136|, |v137|, v22                        // 000000008AD4: D1D30316 045B1388
	v_max3_f32 v22, |v138|, |v139|, v22                        // 000000008ADC: D1D30316 045B178A
	v_max3_f32 v23, |v140|, |v141|, v23                        // 000000008AE4: D1D30317 045F1B8C
	v_max3_f32 v23, |v142|, |v143|, v23                        // 000000008AEC: D1D30317 045F1F8E
	v_max3_f32 v22, |v144|, |v145|, v22                        // 000000008AF4: D1D30316 045B2390
	v_max3_f32 v22, |v146|, |v147|, v22                        // 000000008AFC: D1D30316 045B2792
	v_max3_f32 v23, |v148|, |v149|, v23                        // 000000008B04: D1D30317 045F2B94
	v_max3_f32 v23, |v150|, |v151|, v23                        // 000000008B0C: D1D30317 045F2F96
	v_max3_f32 v22, |v152|, |v153|, v22                        // 000000008B14: D1D30316 045B3398
	v_max3_f32 v22, |v154|, |v155|, v22                        // 000000008B1C: D1D30316 045B379A
	v_max3_f32 v23, |v156|, |v157|, v23                        // 000000008B24: D1D30317 045F3B9C
	v_max3_f32 v23, |v158|, |v159|, v23                        // 000000008B2C: D1D30317 045F3F9E
	v_max3_f32 v22, |v160|, |v161|, v22                        // 000000008B34: D1D30316 045B43A0
	v_max3_f32 v22, |v162|, |v163|, v22                        // 000000008B3C: D1D30316 045B47A2
	v_max3_f32 v23, |v164|, |v165|, v23                        // 000000008B44: D1D30317 045F4BA4
	v_max3_f32 v23, |v166|, |v167|, v23                        // 000000008B4C: D1D30317 045F4FA6
	v_lshlrev_b32_e32 v50, 3, v0                               // 000000008B54: 24640083
	s_mul_i32 s60, 0x200, s7                                   // 000000008B58: 923C07FF 00000200
	v_add_u32_e32 v50, s60, v50                                // 000000008B60: 6864643C
	ds_write_b64 v50, v[22:23] offset:16640                    // 000000008B64: D89A4100 00001632
	s_waitcnt lgkmcnt(0)                                       // 000000008B6C: BF8CC07F
	s_barrier                                                  // 000000008B70: BF8A0000
	v_and_b32_e32 v50, 15, v0                                  // 000000008B74: 2664008F
	v_lshlrev_b32_e32 v50, 3, v50                              // 000000008B78: 24646483
	ds_read_b64 v[96:97], v50 offset:16640                     // 000000008B7C: D8EC4100 60000032
	ds_read_b64 v[98:99], v50 offset:16768                     // 000000008B84: D8EC4180 62000032
	ds_read_b64 v[100:101], v50 offset:16896                   // 000000008B8C: D8EC4200 64000032
	ds_read_b64 v[102:103], v50 offset:17024                   // 000000008B94: D8EC4280 66000032
	ds_read_b64 v[104:105], v50 offset:17152                   // 000000008B9C: D8EC4300 68000032
	ds_read_b64 v[106:107], v50 offset:17280                   // 000000008BA4: D8EC4380 6A000032
	ds_read_b64 v[108:109], v50 offset:17408                   // 000000008BAC: D8EC4400 6C000032
	ds_read_b64 v[110:111], v50 offset:17536                   // 000000008BB4: D8EC4480 6E000032
	ds_read_b64 v[112:113], v50 offset:17664                   // 000000008BBC: D8EC4500 70000032
	ds_read_b64 v[114:115], v50 offset:17792                   // 000000008BC4: D8EC4580 72000032
	ds_read_b64 v[116:117], v50 offset:17920                   // 000000008BCC: D8EC4600 74000032
	ds_read_b64 v[118:119], v50 offset:18048                   // 000000008BD4: D8EC4680 76000032
	ds_read_b64 v[120:121], v50 offset:18176                   // 000000008BDC: D8EC4700 78000032
	ds_read_b64 v[122:123], v50 offset:18304                   // 000000008BE4: D8EC4780 7A000032
	ds_read_b64 v[124:125], v50 offset:18432                   // 000000008BEC: D8EC4800 7C000032
	ds_read_b64 v[126:127], v50 offset:18560                   // 000000008BF4: D8EC4880 7E000032
	s_waitcnt lgkmcnt(0)                                       // 000000008BFC: BF8CC07F
	v_max3_f32 v22, |v96|, |v98|, v22                          // 000000008C00: D1D30316 045AC560
	v_max3_f32 v23, |v97|, |v99|, v23                          // 000000008C08: D1D30317 045EC761
	v_max3_f32 v22, |v100|, |v102|, v22                        // 000000008C10: D1D30316 045ACD64
	v_max3_f32 v23, |v101|, |v103|, v23                        // 000000008C18: D1D30317 045ECF65
	v_max3_f32 v22, |v104|, |v106|, v22                        // 000000008C20: D1D30316 045AD568
	v_max3_f32 v23, |v105|, |v107|, v23                        // 000000008C28: D1D30317 045ED769
	v_max3_f32 v22, |v108|, |v110|, v22                        // 000000008C30: D1D30316 045ADD6C
	v_max3_f32 v23, |v109|, |v111|, v23                        // 000000008C38: D1D30317 045EDF6D
	v_max3_f32 v22, |v112|, |v114|, v22                        // 000000008C40: D1D30316 045AE570
	v_max3_f32 v23, |v113|, |v115|, v23                        // 000000008C48: D1D30317 045EE771
	v_max3_f32 v22, |v116|, |v118|, v22                        // 000000008C50: D1D30316 045AED74
	v_max3_f32 v23, |v117|, |v119|, v23                        // 000000008C58: D1D30317 045EEF75
	v_max3_f32 v22, |v120|, |v122|, v22                        // 000000008C60: D1D30316 045AF578
	v_max3_f32 v23, |v121|, |v123|, v23                        // 000000008C68: D1D30317 045EF779
	v_max3_f32 v22, |v124|, |v126|, v22                        // 000000008C70: D1D30316 045AFD7C
	v_max3_f32 v23, |v125|, |v127|, v23                        // 000000008C78: D1D30317 045EFF7D
	v_rcp_f32_e32 v22, v22                                     // 000000008C80: 7E2C4516
	v_rcp_f32_e32 v23, v23                                     // 000000008C84: 7E2E4517
	v_mov_b32_e32 v50, 0x43700000                              // 000000008C88: 7E6402FF 43700000
	v_mul_f32_e32 v22, v50, v22                                // 000000008C90: 0A2C2D32
	v_mul_f32_e32 v23, v50, v23                                // 000000008C94: 0A2E2F32
	v_mul_f32_e32 v128, v22, v128                              // 000000008C98: 0B010116
	v_mul_f32_e32 v129, v22, v129                              // 000000008C9C: 0B030316
	v_mul_f32_e32 v130, v22, v130                              // 000000008CA0: 0B050516
	v_mul_f32_e32 v131, v22, v131                              // 000000008CA4: 0B070716
	v_cvt_pk_fp8_f32 v128, v128, v129                          // 000000008CA8: D2A20080 00030380
	v_cvt_pk_fp8_f32 v128, v130, v131 op_sel:[0,0,1]           // 000000008CB0: D2A24080 00030782
	v_mul_f32_e32 v132, v23, v132                              // 000000008CB8: 0B090917
	v_mul_f32_e32 v133, v23, v133                              // 000000008CBC: 0B0B0B17
	v_mul_f32_e32 v134, v23, v134                              // 000000008CC0: 0B0D0D17
	v_mul_f32_e32 v135, v23, v135                              // 000000008CC4: 0B0F0F17
	v_cvt_pk_fp8_f32 v129, v132, v133                          // 000000008CC8: D2A20081 00030B84
	v_cvt_pk_fp8_f32 v129, v134, v135 op_sel:[0,0,1]           // 000000008CD0: D2A24081 00030F86
	v_mul_f32_e32 v136, v22, v136                              // 000000008CD8: 0B111116
	v_mul_f32_e32 v137, v22, v137                              // 000000008CDC: 0B131316
	v_mul_f32_e32 v138, v22, v138                              // 000000008CE0: 0B151516
	v_mul_f32_e32 v139, v22, v139                              // 000000008CE4: 0B171716
	v_cvt_pk_fp8_f32 v130, v136, v137                          // 000000008CE8: D2A20082 00031388
	v_cvt_pk_fp8_f32 v130, v138, v139 op_sel:[0,0,1]           // 000000008CF0: D2A24082 0003178A
	v_mul_f32_e32 v140, v23, v140                              // 000000008CF8: 0B191917
	v_mul_f32_e32 v141, v23, v141                              // 000000008CFC: 0B1B1B17
	v_mul_f32_e32 v142, v23, v142                              // 000000008D00: 0B1D1D17
	v_mul_f32_e32 v143, v23, v143                              // 000000008D04: 0B1F1F17
	v_cvt_pk_fp8_f32 v131, v140, v141                          // 000000008D08: D2A20083 00031B8C
	v_cvt_pk_fp8_f32 v131, v142, v143 op_sel:[0,0,1]           // 000000008D10: D2A24083 00031F8E
	v_mul_f32_e32 v144, v22, v144                              // 000000008D18: 0B212116
	v_mul_f32_e32 v145, v22, v145                              // 000000008D1C: 0B232316
	v_mul_f32_e32 v146, v22, v146                              // 000000008D20: 0B252516
	v_mul_f32_e32 v147, v22, v147                              // 000000008D24: 0B272716
	v_cvt_pk_fp8_f32 v132, v144, v145                          // 000000008D28: D2A20084 00032390
	v_cvt_pk_fp8_f32 v132, v146, v147 op_sel:[0,0,1]           // 000000008D30: D2A24084 00032792
	v_mul_f32_e32 v148, v23, v148                              // 000000008D38: 0B292917
	v_mul_f32_e32 v149, v23, v149                              // 000000008D3C: 0B2B2B17
	v_mul_f32_e32 v150, v23, v150                              // 000000008D40: 0B2D2D17
	v_mul_f32_e32 v151, v23, v151                              // 000000008D44: 0B2F2F17
	v_cvt_pk_fp8_f32 v133, v148, v149                          // 000000008D48: D2A20085 00032B94
	v_cvt_pk_fp8_f32 v133, v150, v151 op_sel:[0,0,1]           // 000000008D50: D2A24085 00032F96
	v_mul_f32_e32 v152, v22, v152                              // 000000008D58: 0B313116
	v_mul_f32_e32 v153, v22, v153                              // 000000008D5C: 0B333316
	v_mul_f32_e32 v154, v22, v154                              // 000000008D60: 0B353516
	v_mul_f32_e32 v155, v22, v155                              // 000000008D64: 0B373716
	v_cvt_pk_fp8_f32 v134, v152, v153                          // 000000008D68: D2A20086 00033398
	v_cvt_pk_fp8_f32 v134, v154, v155 op_sel:[0,0,1]           // 000000008D70: D2A24086 0003379A
	v_mul_f32_e32 v156, v23, v156                              // 000000008D78: 0B393917
	v_mul_f32_e32 v157, v23, v157                              // 000000008D7C: 0B3B3B17
	v_mul_f32_e32 v158, v23, v158                              // 000000008D80: 0B3D3D17
	v_mul_f32_e32 v159, v23, v159                              // 000000008D84: 0B3F3F17
	v_cvt_pk_fp8_f32 v135, v156, v157                          // 000000008D88: D2A20087 00033B9C
	v_cvt_pk_fp8_f32 v135, v158, v159 op_sel:[0,0,1]           // 000000008D90: D2A24087 00033F9E
	v_mul_f32_e32 v160, v22, v160                              // 000000008D98: 0B414116
	v_mul_f32_e32 v161, v22, v161                              // 000000008D9C: 0B434316
	v_mul_f32_e32 v162, v22, v162                              // 000000008DA0: 0B454516
	v_mul_f32_e32 v163, v22, v163                              // 000000008DA4: 0B474716
	v_cvt_pk_fp8_f32 v136, v160, v161                          // 000000008DA8: D2A20088 000343A0
	v_cvt_pk_fp8_f32 v136, v162, v163 op_sel:[0,0,1]           // 000000008DB0: D2A24088 000347A2
	v_mul_f32_e32 v164, v23, v164                              // 000000008DB8: 0B494917
	v_mul_f32_e32 v165, v23, v165                              // 000000008DBC: 0B4B4B17
	v_mul_f32_e32 v166, v23, v166                              // 000000008DC0: 0B4D4D17
	v_mul_f32_e32 v167, v23, v167                              // 000000008DC4: 0B4F4F17
	v_cvt_pk_fp8_f32 v137, v164, v165                          // 000000008DC8: D2A20089 00034BA4
	v_cvt_pk_fp8_f32 v137, v166, v167 op_sel:[0,0,1]           // 000000008DD0: D2A24089 00034FA6
	v_rcp_f32_e32 v24, v22                                     // 000000008DD8: 7E304516
	v_rcp_f32_e32 v25, v23                                     // 000000008DDC: 7E324517
	v_lshrrev_b32_e32 v50, 5, v0                               // 000000008DE0: 20640085
	v_lshlrev_b32_e32 v51, 5, v50                              // 000000008DE4: 24666485
	v_and_b32_e32 v50, 31, v0                                  // 000000008DE8: 2664009F
	v_lshrrev_b32_e32 v52, 4, v50                              // 000000008DEC: 20686484
	v_add_u32_e32 v51, v52, v51                                // 000000008DF0: 68666734
	v_and_b32_e32 v50, 15, v0                                  // 000000008DF4: 2664008F
	v_lshlrev_b32_e32 v50, 1, v50                              // 000000008DF8: 24646481
	v_add_u32_e32 v51, v50, v51                                // 000000008DFC: 68666732
	v_lshlrev_b32_e32 v50, 2, v51                              // 000000008E00: 24646682
	s_mul_i32 s60, 0x100, s7                                   // 000000008E04: 923C07FF 00000100
	v_add_u32_e64 v50, v50, s60                                // 000000008E0C: D1340032 00007932
	ds_write_b32 v50, v128 offset:18688                        // 000000008E14: D81A4900 00008032
	ds_write_b32 v50, v129 offset:23808                        // 000000008E1C: D81A5D00 00008132
	ds_write_b32 v50, v130 offset:19712                        // 000000008E24: D81A4D00 00008232
	ds_write_b32 v50, v131 offset:24832                        // 000000008E2C: D81A6100 00008332
	ds_write_b32 v50, v132 offset:20736                        // 000000008E34: D81A5100 00008432
	ds_write_b32 v50, v133 offset:25856                        // 000000008E3C: D81A6500 00008532
	ds_write_b32 v50, v134 offset:21760                        // 000000008E44: D81A5500 00008632
	ds_write_b32 v50, v135 offset:26880                        // 000000008E4C: D81A6900 00008732
	ds_write_b32 v50, v136 offset:22784                        // 000000008E54: D81A5900 00008832
	ds_write_b32 v50, v137 offset:27904                        // 000000008E5C: D81A6D00 00008932
	s_waitcnt lgkmcnt(0)                                       // 000000008E64: BF8CC07F
	s_barrier                                                  // 000000008E68: BF8A0000
	v_lshrrev_b32_e32 v50, 4, v0                               // 000000008E6C: 20640084
	v_lshlrev_b32_e32 v51, 6, v50                              // 000000008E70: 24666486
	v_and_b32_e32 v50, 15, v0                                  // 000000008E74: 2664008F
	v_lshlrev_b32_e32 v50, 1, v50                              // 000000008E78: 24646481
	v_add_u32_e32 v51, v50, v51                                // 000000008E7C: 68666732
	v_lshlrev_b32_e32 v50, 2, v51                              // 000000008E80: 24646682
	ds_read_b64 v[128:129], v50 offset:18688                   // 000000008E84: D8EC4900 80000032
	ds_read_b64 v[130:131], v50 offset:18816                   // 000000008E8C: D8EC4980 82000032
	ds_read_b64 v[132:133], v50 offset:19712                   // 000000008E94: D8EC4D00 84000032
	ds_read_b64 v[134:135], v50 offset:19840                   // 000000008E9C: D8EC4D80 86000032
	ds_read_b64 v[136:137], v50 offset:20736                   // 000000008EA4: D8EC5100 88000032
	ds_read_b64 v[138:139], v50 offset:20864                   // 000000008EAC: D8EC5180 8A000032
	ds_read_b64 v[140:141], v50 offset:21760                   // 000000008EB4: D8EC5500 8C000032
	ds_read_b64 v[142:143], v50 offset:21888                   // 000000008EBC: D8EC5580 8E000032
	ds_read_b64 v[144:145], v50 offset:22784                   // 000000008EC4: D8EC5900 90000032
	ds_read_b64 v[146:147], v50 offset:22912                   // 000000008ECC: D8EC5980 92000032
	ds_read_b64 v[148:149], v50 offset:23808                   // 000000008ED4: D8EC5D00 94000032
	ds_read_b64 v[150:151], v50 offset:23936                   // 000000008EDC: D8EC5D80 96000032
	ds_read_b64 v[152:153], v50 offset:24832                   // 000000008EE4: D8EC6100 98000032
	ds_read_b64 v[154:155], v50 offset:24960                   // 000000008EEC: D8EC6180 9A000032
	ds_read_b64 v[156:157], v50 offset:25856                   // 000000008EF4: D8EC6500 9C000032
	ds_read_b64 v[158:159], v50 offset:25984                   // 000000008EFC: D8EC6580 9E000032
	ds_read_b64 v[160:161], v50 offset:26880                   // 000000008F04: D8EC6900 A0000032
	ds_read_b64 v[162:163], v50 offset:27008                   // 000000008F0C: D8EC6980 A2000032
	ds_read_b64 v[164:165], v50 offset:27904                   // 000000008F14: D8EC6D00 A4000032
	ds_read_b64 v[166:167], v50 offset:28032                   // 000000008F1C: D8EC6D80 A6000032
	s_add_u32 s12, s56, s12                                    // 000000008F24: 800C0C38
	s_addc_u32 s13, 0, s13                                     // 000000008F28: 820D0D80
	s_add_u32 s16, s79, s16                                    // 000000008F2C: 8010104F
	s_addc_u32 s17, 0, s17                                     // 000000008F30: 82111180
	s_mov_b32 s80, 0                                           // 000000008F34: BED00080
	s_waitcnt vmcnt(0) expcnt(0) lgkmcnt(0)                    // 000000008F38: BF8C0000

0000000000008f3c <label_184F>:
	s_waitcnt vmcnt(33)                                        // 000000008F3C: BF8C8F71
	s_barrier                                                  // 000000008F40: BF8A0000
	v_mfma_f32_16x16x32_fp8_fp8 v[168:171], a[0:1], v[128:129], 0// 000000008F44: D3F300A8 0A030100
	buffer_load_dwordx4 a[80:83], v39, s[12:15], 0 offen       // 000000008F4C: E05C1000 80835027
	v_mfma_f32_16x16x32_fp8_fp8 v[168:171], a[2:3], v[130:131], v[168:171]// 000000008F54: D3F300A8 0EA30502
	v_mfma_f32_16x16x32_fp8_fp8 v[172:175], a[0:1], v[148:149], 0// 000000008F5C: D3F300AC 0A032900
	v_mfma_f32_16x16x32_fp8_fp8 v[172:175], a[2:3], v[150:151], v[172:175]// 000000008F64: D3F300AC 0EB32D02
	v_mfma_f32_16x16x32_fp8_fp8 v[176:179], a[4:5], v[128:129], 0// 000000008F6C: D3F300B0 0A030104
	buffer_load_dwordx4 a[84:87], v40, s[12:15], 0 offen       // 000000008F74: E05C1000 80835428
	v_mfma_f32_16x16x32_fp8_fp8 v[176:179], a[6:7], v[130:131], v[176:179]// 000000008F7C: D3F300B0 0EC30506
	v_mfma_f32_16x16x32_fp8_fp8 v[180:183], a[4:5], v[148:149], 0// 000000008F84: D3F300B4 0A032904
	v_mfma_f32_16x16x32_fp8_fp8 v[180:183], a[6:7], v[150:151], v[180:183]// 000000008F8C: D3F300B4 0ED32D06
	v_mfma_f32_16x16x32_fp8_fp8 v[184:187], a[8:9], v[128:129], 0// 000000008F94: D3F300B8 0A030108
	buffer_load_dwordx4 a[88:91], v41, s[12:15], 0 offen       // 000000008F9C: E05C1000 80835829
	v_mfma_f32_16x16x32_fp8_fp8 v[184:187], a[10:11], v[130:131], v[184:187]// 000000008FA4: D3F300B8 0EE3050A
	v_mfma_f32_16x16x32_fp8_fp8 v[188:191], a[8:9], v[148:149], 0// 000000008FAC: D3F300BC 0A032908
	v_mfma_f32_16x16x32_fp8_fp8 v[188:191], a[10:11], v[150:151], v[188:191]// 000000008FB4: D3F300BC 0EF32D0A
	v_mfma_f32_16x16x32_fp8_fp8 v[192:195], a[12:13], v[128:129], 0// 000000008FBC: D3F300C0 0A03010C
	buffer_load_dwordx4 a[92:95], v42, s[12:15], 0 offen       // 000000008FC4: E05C1000 80835C2A
	s_add_u32 s12, s78, s12                                    // 000000008FCC: 800C0C4E
	s_addc_u32 s13, 0, s13                                     // 000000008FD0: 820D0D80
	v_mfma_f32_16x16x32_fp8_fp8 v[192:195], a[14:15], v[130:131], v[192:195]// 000000008FD4: D3F300C0 0F03050E
	v_mfma_f32_16x16x32_fp8_fp8 v[196:199], a[12:13], v[148:149], 0// 000000008FDC: D3F300C4 0A03290C
	v_mfma_f32_16x16x32_fp8_fp8 v[196:199], a[14:15], v[150:151], v[196:199]// 000000008FE4: D3F300C4 0F132D0E
	s_waitcnt vmcnt(33)                                        // 000000008FEC: BF8C8F71
	v_mfma_f32_16x16x32_fp8_fp8 v[168:171], a[16:17], v[132:133], v[168:171]// 000000008FF0: D3F300A8 0EA30910
	buffer_load_dwordx4 a[96:99], v39, s[12:15], 0 offen       // 000000008FF8: E05C1000 80836027
	v_mfma_f32_16x16x32_fp8_fp8 v[168:171], a[18:19], v[134:135], v[168:171]// 000000009000: D3F300A8 0EA30D12
	v_mfma_f32_16x16x32_fp8_fp8 v[172:175], a[16:17], v[152:153], v[172:175]// 000000009008: D3F300AC 0EB33110
	v_mfma_f32_16x16x32_fp8_fp8 v[172:175], a[18:19], v[154:155], v[172:175]// 000000009010: D3F300AC 0EB33512
	v_mfma_f32_16x16x32_fp8_fp8 v[176:179], a[20:21], v[132:133], v[176:179]// 000000009018: D3F300B0 0EC30914
	buffer_load_dwordx4 a[100:103], v40, s[12:15], 0 offen     // 000000009020: E05C1000 80836428
	v_mfma_f32_16x16x32_fp8_fp8 v[176:179], a[22:23], v[134:135], v[176:179]// 000000009028: D3F300B0 0EC30D16
	v_mfma_f32_16x16x32_fp8_fp8 v[180:183], a[20:21], v[152:153], v[180:183]// 000000009030: D3F300B4 0ED33114
	v_mfma_f32_16x16x32_fp8_fp8 v[180:183], a[22:23], v[154:155], v[180:183]// 000000009038: D3F300B4 0ED33516
	v_mfma_f32_16x16x32_fp8_fp8 v[184:187], a[24:25], v[132:133], v[184:187]// 000000009040: D3F300B8 0EE30918
	buffer_load_dwordx4 a[104:107], v41, s[12:15], 0 offen     // 000000009048: E05C1000 80836829
	v_mfma_f32_16x16x32_fp8_fp8 v[184:187], a[26:27], v[134:135], v[184:187]// 000000009050: D3F300B8 0EE30D1A
	v_mfma_f32_16x16x32_fp8_fp8 v[188:191], a[24:25], v[152:153], v[188:191]// 000000009058: D3F300BC 0EF33118
	v_mfma_f32_16x16x32_fp8_fp8 v[188:191], a[26:27], v[154:155], v[188:191]// 000000009060: D3F300BC 0EF3351A
	v_mfma_f32_16x16x32_fp8_fp8 v[192:195], a[28:29], v[132:133], v[192:195]// 000000009068: D3F300C0 0F03091C
	buffer_load_dwordx4 a[108:111], v42, s[12:15], 0 offen     // 000000009070: E05C1000 80836C2A
	s_add_u32 s12, s78, s12                                    // 000000009078: 800C0C4E
	s_addc_u32 s13, 0, s13                                     // 00000000907C: 820D0D80
	v_mfma_f32_16x16x32_fp8_fp8 v[192:195], a[30:31], v[134:135], v[192:195]// 000000009080: D3F300C0 0F030D1E
	v_mfma_f32_16x16x32_fp8_fp8 v[196:199], a[28:29], v[152:153], v[196:199]// 000000009088: D3F300C4 0F13311C
	v_mfma_f32_16x16x32_fp8_fp8 v[196:199], a[30:31], v[154:155], v[196:199]// 000000009090: D3F300C4 0F13351E
	s_waitcnt vmcnt(33)                                        // 000000009098: BF8C8F71
	v_mfma_f32_16x16x32_fp8_fp8 v[168:171], a[32:33], v[136:137], v[168:171]// 00000000909C: D3F300A8 0EA31120
	buffer_load_dwordx4 a[112:115], v39, s[12:15], 0 offen     // 0000000090A4: E05C1000 80837027
	v_mfma_f32_16x16x32_fp8_fp8 v[168:171], a[34:35], v[138:139], v[168:171]// 0000000090AC: D3F300A8 0EA31522
	v_mfma_f32_16x16x32_fp8_fp8 v[172:175], a[32:33], v[156:157], v[172:175]// 0000000090B4: D3F300AC 0EB33920
	v_mfma_f32_16x16x32_fp8_fp8 v[172:175], a[34:35], v[158:159], v[172:175]// 0000000090BC: D3F300AC 0EB33D22
	v_mfma_f32_16x16x32_fp8_fp8 v[176:179], a[36:37], v[136:137], v[176:179]// 0000000090C4: D3F300B0 0EC31124
	buffer_load_dwordx4 a[116:119], v40, s[12:15], 0 offen     // 0000000090CC: E05C1000 80837428
	v_mfma_f32_16x16x32_fp8_fp8 v[176:179], a[38:39], v[138:139], v[176:179]// 0000000090D4: D3F300B0 0EC31526
	v_mfma_f32_16x16x32_fp8_fp8 v[180:183], a[36:37], v[156:157], v[180:183]// 0000000090DC: D3F300B4 0ED33924
	v_mfma_f32_16x16x32_fp8_fp8 v[180:183], a[38:39], v[158:159], v[180:183]// 0000000090E4: D3F300B4 0ED33D26
	v_mfma_f32_16x16x32_fp8_fp8 v[184:187], a[40:41], v[136:137], v[184:187]// 0000000090EC: D3F300B8 0EE31128
	buffer_load_dwordx4 a[120:123], v41, s[12:15], 0 offen     // 0000000090F4: E05C1000 80837829
	v_mfma_f32_16x16x32_fp8_fp8 v[184:187], a[42:43], v[138:139], v[184:187]// 0000000090FC: D3F300B8 0EE3152A
	v_mfma_f32_16x16x32_fp8_fp8 v[188:191], a[40:41], v[156:157], v[188:191]// 000000009104: D3F300BC 0EF33928
	v_mfma_f32_16x16x32_fp8_fp8 v[188:191], a[42:43], v[158:159], v[188:191]// 00000000910C: D3F300BC 0EF33D2A
	v_mfma_f32_16x16x32_fp8_fp8 v[192:195], a[44:45], v[136:137], v[192:195]// 000000009114: D3F300C0 0F03112C
	buffer_load_dwordx4 a[124:127], v42, s[12:15], 0 offen     // 00000000911C: E05C1000 80837C2A
	s_add_u32 s12, s78, s12                                    // 000000009124: 800C0C4E
	s_addc_u32 s13, 0, s13                                     // 000000009128: 820D0D80
	v_mfma_f32_16x16x32_fp8_fp8 v[192:195], a[46:47], v[138:139], v[192:195]// 00000000912C: D3F300C0 0F03152E
	v_mfma_f32_16x16x32_fp8_fp8 v[196:199], a[44:45], v[156:157], v[196:199]// 000000009134: D3F300C4 0F13392C
	v_mfma_f32_16x16x32_fp8_fp8 v[196:199], a[46:47], v[158:159], v[196:199]// 00000000913C: D3F300C4 0F133D2E
	s_waitcnt vmcnt(33)                                        // 000000009144: BF8C8F71
	v_mfma_f32_16x16x32_fp8_fp8 v[168:171], a[48:49], v[140:141], v[168:171]// 000000009148: D3F300A8 0EA31930
	buffer_load_dwordx4 a[128:131], v39, s[12:15], 0 offen     // 000000009150: E05C1000 80838027
	v_mfma_f32_16x16x32_fp8_fp8 v[168:171], a[50:51], v[142:143], v[168:171]// 000000009158: D3F300A8 0EA31D32
	v_mfma_f32_16x16x32_fp8_fp8 v[172:175], a[48:49], v[160:161], v[172:175]// 000000009160: D3F300AC 0EB34130
	v_mfma_f32_16x16x32_fp8_fp8 v[172:175], a[50:51], v[162:163], v[172:175]// 000000009168: D3F300AC 0EB34532
	v_mfma_f32_16x16x32_fp8_fp8 v[176:179], a[52:53], v[140:141], v[176:179]// 000000009170: D3F300B0 0EC31934
	buffer_load_dwordx4 a[132:135], v40, s[12:15], 0 offen     // 000000009178: E05C1000 80838428
	v_mfma_f32_16x16x32_fp8_fp8 v[176:179], a[54:55], v[142:143], v[176:179]// 000000009180: D3F300B0 0EC31D36
	v_mfma_f32_16x16x32_fp8_fp8 v[180:183], a[52:53], v[160:161], v[180:183]// 000000009188: D3F300B4 0ED34134
	v_mfma_f32_16x16x32_fp8_fp8 v[180:183], a[54:55], v[162:163], v[180:183]// 000000009190: D3F300B4 0ED34536
	v_mfma_f32_16x16x32_fp8_fp8 v[184:187], a[56:57], v[140:141], v[184:187]// 000000009198: D3F300B8 0EE31938
	buffer_load_dwordx4 a[136:139], v41, s[12:15], 0 offen     // 0000000091A0: E05C1000 80838829
	v_mfma_f32_16x16x32_fp8_fp8 v[184:187], a[58:59], v[142:143], v[184:187]// 0000000091A8: D3F300B8 0EE31D3A
	v_mfma_f32_16x16x32_fp8_fp8 v[188:191], a[56:57], v[160:161], v[188:191]// 0000000091B0: D3F300BC 0EF34138
	v_mfma_f32_16x16x32_fp8_fp8 v[188:191], a[58:59], v[162:163], v[188:191]// 0000000091B8: D3F300BC 0EF3453A
	v_mfma_f32_16x16x32_fp8_fp8 v[192:195], a[60:61], v[140:141], v[192:195]// 0000000091C0: D3F300C0 0F03193C
	buffer_load_dwordx4 a[140:143], v42, s[12:15], 0 offen     // 0000000091C8: E05C1000 80838C2A
	s_add_u32 s12, s78, s12                                    // 0000000091D0: 800C0C4E
	s_addc_u32 s13, 0, s13                                     // 0000000091D4: 820D0D80
	v_mfma_f32_16x16x32_fp8_fp8 v[192:195], a[62:63], v[142:143], v[192:195]// 0000000091D8: D3F300C0 0F031D3E
	v_mfma_f32_16x16x32_fp8_fp8 v[196:199], a[60:61], v[160:161], v[196:199]// 0000000091E0: D3F300C4 0F13413C
	v_mfma_f32_16x16x32_fp8_fp8 v[196:199], a[62:63], v[162:163], v[196:199]// 0000000091E8: D3F300C4 0F13453E
	s_waitcnt vmcnt(32)                                        // 0000000091F0: BF8C8F70
	v_mfma_f32_16x16x32_fp8_fp8 v[168:171], a[64:65], v[144:145], v[168:171]// 0000000091F4: D3F300A8 0EA32140
	buffer_load_dwordx4 a[144:147], v39, s[12:15], 0 offen     // 0000000091FC: E05C1000 80839027
	v_mfma_f32_16x16x32_fp8_fp8 v[168:171], a[66:67], v[146:147], v[168:171]// 000000009204: D3F300A8 0EA32542
	v_mfma_f32_16x16x32_fp8_fp8 v[172:175], a[64:65], v[164:165], v[172:175]// 00000000920C: D3F300AC 0EB34940
	buffer_load_dword v13, v5, s[16:19], 0 offen               // 000000009214: E0501000 80040D05
	v_mfma_f32_16x16x32_fp8_fp8 v[172:175], a[66:67], v[166:167], v[172:175]// 00000000921C: D3F300AC 0EB34D42
	v_mfma_f32_16x16x32_fp8_fp8 v[176:179], a[68:69], v[144:145], v[176:179]// 000000009224: D3F300B0 0EC32144
	buffer_load_dwordx4 a[148:151], v40, s[12:15], 0 offen     // 00000000922C: E05C1000 80839428
	v_mfma_f32_16x16x32_fp8_fp8 v[176:179], a[70:71], v[146:147], v[176:179]// 000000009234: D3F300B0 0EC32546
	v_mfma_f32_16x16x32_fp8_fp8 v[180:183], a[68:69], v[164:165], v[180:183]// 00000000923C: D3F300B4 0ED34944
	v_mfma_f32_16x16x32_fp8_fp8 v[180:183], a[70:71], v[166:167], v[180:183]// 000000009244: D3F300B4 0ED34D46
	v_mfma_f32_16x16x32_fp8_fp8 v[184:187], a[72:73], v[144:145], v[184:187]// 00000000924C: D3F300B8 0EE32148
	buffer_load_dwordx4 a[152:155], v41, s[12:15], 0 offen     // 000000009254: E05C1000 80839829
	v_mfma_f32_16x16x32_fp8_fp8 v[184:187], a[74:75], v[146:147], v[184:187]// 00000000925C: D3F300B8 0EE3254A
	v_mfma_f32_16x16x32_fp8_fp8 v[188:191], a[72:73], v[164:165], v[188:191]// 000000009264: D3F300BC 0EF34948
	v_mfma_f32_16x16x32_fp8_fp8 v[188:191], a[74:75], v[166:167], v[188:191]// 00000000926C: D3F300BC 0EF34D4A
	v_mfma_f32_16x16x32_fp8_fp8 v[192:195], a[76:77], v[144:145], v[192:195]// 000000009274: D3F300C0 0F03214C
	buffer_load_dwordx4 a[156:159], v42, s[12:15], 0 offen     // 00000000927C: E05C1000 80839C2A
	v_mfma_f32_16x16x32_fp8_fp8 v[192:195], a[78:79], v[146:147], v[192:195]// 000000009284: D3F300C0 0F03254E
	v_mfma_f32_16x16x32_fp8_fp8 v[196:199], a[76:77], v[164:165], v[196:199]// 00000000928C: D3F300C4 0F13494C
	v_mfma_f32_16x16x32_fp8_fp8 v[196:199], a[78:79], v[166:167], v[196:199]// 000000009294: D3F300C4 0F134D4E
	s_add_u32 s60, 0x200, s80                                  // 00000000929C: 803C50FF 00000200
	s_cmp_lt_u32 s60, s81                                      // 0000000092A4: BF0A513C
	s_cselect_b32 s56, s56, 0                                  // 0000000092A8: 85388038
	s_cselect_b32 s78, s78, 0                                  // 0000000092AC: 854E804E
	s_cselect_b32 s79, s79, 0                                  // 0000000092B0: 854F804F
	s_add_u32 s12, s56, s12                                    // 0000000092B4: 800C0C38
	s_addc_u32 s13, 0, s13                                     // 0000000092B8: 820D0D80
	s_add_u32 s16, s79, s16                                    // 0000000092BC: 8010104F
	s_addc_u32 s17, 0, s17                                     // 0000000092C0: 82111180
	v_mul_f32_e32 v168, v24, v168                              // 0000000092C4: 0B515118
	v_mul_f32_e32 v169, v24, v169                              // 0000000092C8: 0B535318
	v_mul_f32_e32 v170, v24, v170                              // 0000000092CC: 0B555518
	v_mul_f32_e32 v171, v24, v171                              // 0000000092D0: 0B575718
	v_mul_f32_dpp v168, v12, v168 row_newbcast:0 row_mask:0xf bank_mask:0xf// 0000000092D4: 0B5150FA FF01500C
	v_mul_f32_dpp v169, v12, v169 row_newbcast:1 row_mask:0xf bank_mask:0xf// 0000000092DC: 0B5352FA FF01510C
	v_mul_f32_dpp v170, v12, v170 row_newbcast:2 row_mask:0xf bank_mask:0xf// 0000000092E4: 0B5554FA FF01520C
	v_mul_f32_dpp v171, v12, v171 row_newbcast:3 row_mask:0xf bank_mask:0xf// 0000000092EC: 0B5756FA FF01530C
	v_mul_f32_e32 v168, v20, v168                              // 0000000092F4: 0B515114
	v_mul_f32_e32 v169, v20, v169                              // 0000000092F8: 0B535314
	v_mul_f32_e32 v170, v20, v170                              // 0000000092FC: 0B555514
	v_mul_f32_e32 v171, v20, v171                              // 000000009300: 0B575714
	v_mul_f32_e32 v172, v25, v172                              // 000000009304: 0B595919
	v_mul_f32_e32 v173, v25, v173                              // 000000009308: 0B5B5B19
	v_mul_f32_e32 v174, v25, v174                              // 00000000930C: 0B5D5D19
	v_mul_f32_e32 v175, v25, v175                              // 000000009310: 0B5F5F19
	v_mul_f32_dpp v172, v12, v172 row_newbcast:0 row_mask:0xf bank_mask:0xf// 000000009314: 0B5958FA FF01500C
	v_mul_f32_dpp v173, v12, v173 row_newbcast:1 row_mask:0xf bank_mask:0xf// 00000000931C: 0B5B5AFA FF01510C
	v_mul_f32_dpp v174, v12, v174 row_newbcast:2 row_mask:0xf bank_mask:0xf// 000000009324: 0B5D5CFA FF01520C
	v_mul_f32_dpp v175, v12, v175 row_newbcast:3 row_mask:0xf bank_mask:0xf// 00000000932C: 0B5F5EFA FF01530C
	v_mul_f32_e32 v172, v21, v172                              // 000000009334: 0B595915
	v_mul_f32_e32 v173, v21, v173                              // 000000009338: 0B5B5B15
	v_mul_f32_e32 v174, v21, v174                              // 00000000933C: 0B5D5D15
	v_mul_f32_e32 v175, v21, v175                              // 000000009340: 0B5F5F15
	v_mul_f32_e32 v176, v24, v176                              // 000000009344: 0B616118
	v_mul_f32_e32 v177, v24, v177                              // 000000009348: 0B636318
	v_mul_f32_e32 v178, v24, v178                              // 00000000934C: 0B656518
	v_mul_f32_e32 v179, v24, v179                              // 000000009350: 0B676718
	v_mul_f32_dpp v176, v12, v176 row_newbcast:4 row_mask:0xf bank_mask:0xf// 000000009354: 0B6160FA FF01540C
	v_mul_f32_dpp v177, v12, v177 row_newbcast:5 row_mask:0xf bank_mask:0xf// 00000000935C: 0B6362FA FF01550C
	v_mul_f32_dpp v178, v12, v178 row_newbcast:6 row_mask:0xf bank_mask:0xf// 000000009364: 0B6564FA FF01560C
	v_mul_f32_dpp v179, v12, v179 row_newbcast:7 row_mask:0xf bank_mask:0xf// 00000000936C: 0B6766FA FF01570C
	v_mul_f32_e32 v176, v20, v176                              // 000000009374: 0B616114
	v_mul_f32_e32 v177, v20, v177                              // 000000009378: 0B636314
	v_mul_f32_e32 v178, v20, v178                              // 00000000937C: 0B656514
	v_mul_f32_e32 v179, v20, v179                              // 000000009380: 0B676714
	v_mul_f32_e32 v180, v25, v180                              // 000000009384: 0B696919
	v_mul_f32_e32 v181, v25, v181                              // 000000009388: 0B6B6B19
	v_mul_f32_e32 v182, v25, v182                              // 00000000938C: 0B6D6D19
	v_mul_f32_e32 v183, v25, v183                              // 000000009390: 0B6F6F19
	v_mul_f32_dpp v180, v12, v180 row_newbcast:4 row_mask:0xf bank_mask:0xf// 000000009394: 0B6968FA FF01540C
	v_mul_f32_dpp v181, v12, v181 row_newbcast:5 row_mask:0xf bank_mask:0xf// 00000000939C: 0B6B6AFA FF01550C
	v_mul_f32_dpp v182, v12, v182 row_newbcast:6 row_mask:0xf bank_mask:0xf// 0000000093A4: 0B6D6CFA FF01560C
	v_mul_f32_dpp v183, v12, v183 row_newbcast:7 row_mask:0xf bank_mask:0xf// 0000000093AC: 0B6F6EFA FF01570C
	v_mul_f32_e32 v180, v21, v180                              // 0000000093B4: 0B696915
	v_mul_f32_e32 v181, v21, v181                              // 0000000093B8: 0B6B6B15
	v_mul_f32_e32 v182, v21, v182                              // 0000000093BC: 0B6D6D15
	v_mul_f32_e32 v183, v21, v183                              // 0000000093C0: 0B6F6F15
	v_mul_f32_e32 v184, v24, v184                              // 0000000093C4: 0B717118
	v_mul_f32_e32 v185, v24, v185                              // 0000000093C8: 0B737318
	v_mul_f32_e32 v186, v24, v186                              // 0000000093CC: 0B757518
	v_mul_f32_e32 v187, v24, v187                              // 0000000093D0: 0B777718
	v_mul_f32_dpp v184, v12, v184 row_newbcast:8 row_mask:0xf bank_mask:0xf// 0000000093D4: 0B7170FA FF01580C
	v_mul_f32_dpp v185, v12, v185 row_newbcast:9 row_mask:0xf bank_mask:0xf// 0000000093DC: 0B7372FA FF01590C
	v_mul_f32_dpp v186, v12, v186 row_newbcast:10 row_mask:0xf bank_mask:0xf// 0000000093E4: 0B7574FA FF015A0C
	v_mul_f32_dpp v187, v12, v187 row_newbcast:11 row_mask:0xf bank_mask:0xf// 0000000093EC: 0B7776FA FF015B0C
	v_mul_f32_e32 v184, v20, v184                              // 0000000093F4: 0B717114
	v_mul_f32_e32 v185, v20, v185                              // 0000000093F8: 0B737314
	v_mul_f32_e32 v186, v20, v186                              // 0000000093FC: 0B757514
	v_mul_f32_e32 v187, v20, v187                              // 000000009400: 0B777714
	v_mul_f32_e32 v188, v25, v188                              // 000000009404: 0B797919
	v_mul_f32_e32 v189, v25, v189                              // 000000009408: 0B7B7B19
	v_mul_f32_e32 v190, v25, v190                              // 00000000940C: 0B7D7D19
	v_mul_f32_e32 v191, v25, v191                              // 000000009410: 0B7F7F19
	v_mul_f32_dpp v188, v12, v188 row_newbcast:8 row_mask:0xf bank_mask:0xf// 000000009414: 0B7978FA FF01580C
	v_mul_f32_dpp v189, v12, v189 row_newbcast:9 row_mask:0xf bank_mask:0xf// 00000000941C: 0B7B7AFA FF01590C
	v_mul_f32_dpp v190, v12, v190 row_newbcast:10 row_mask:0xf bank_mask:0xf// 000000009424: 0B7D7CFA FF015A0C
	v_mul_f32_dpp v191, v12, v191 row_newbcast:11 row_mask:0xf bank_mask:0xf// 00000000942C: 0B7F7EFA FF015B0C
	v_mul_f32_e32 v188, v21, v188                              // 000000009434: 0B797915
	v_mul_f32_e32 v189, v21, v189                              // 000000009438: 0B7B7B15
	v_mul_f32_e32 v190, v21, v190                              // 00000000943C: 0B7D7D15
	v_mul_f32_e32 v191, v21, v191                              // 000000009440: 0B7F7F15
	v_mul_f32_e32 v192, v24, v192                              // 000000009444: 0B818118
	v_mul_f32_e32 v193, v24, v193                              // 000000009448: 0B838318
	v_mul_f32_e32 v194, v24, v194                              // 00000000944C: 0B858518
	v_mul_f32_e32 v195, v24, v195                              // 000000009450: 0B878718
	v_mul_f32_dpp v192, v12, v192 row_newbcast:12 row_mask:0xf bank_mask:0xf// 000000009454: 0B8180FA FF015C0C
	v_mul_f32_dpp v193, v12, v193 row_newbcast:13 row_mask:0xf bank_mask:0xf// 00000000945C: 0B8382FA FF015D0C
	v_mul_f32_dpp v194, v12, v194 row_newbcast:14 row_mask:0xf bank_mask:0xf// 000000009464: 0B8584FA FF015E0C
	v_mul_f32_dpp v195, v12, v195 row_newbcast:15 row_mask:0xf bank_mask:0xf// 00000000946C: 0B8786FA FF015F0C
	v_mul_f32_e32 v192, v20, v192                              // 000000009474: 0B818114
	v_mul_f32_e32 v193, v20, v193                              // 000000009478: 0B838314
	v_mul_f32_e32 v194, v20, v194                              // 00000000947C: 0B858514
	v_mul_f32_e32 v195, v20, v195                              // 000000009480: 0B878714
	v_mul_f32_e32 v196, v25, v196                              // 000000009484: 0B898919
	v_mul_f32_e32 v197, v25, v197                              // 000000009488: 0B8B8B19
	v_mul_f32_e32 v198, v25, v198                              // 00000000948C: 0B8D8D19
	v_mul_f32_e32 v199, v25, v199                              // 000000009490: 0B8F8F19
	v_mul_f32_dpp v196, v12, v196 row_newbcast:12 row_mask:0xf bank_mask:0xf// 000000009494: 0B8988FA FF015C0C
	v_mul_f32_dpp v197, v12, v197 row_newbcast:13 row_mask:0xf bank_mask:0xf// 00000000949C: 0B8B8AFA FF015D0C
	v_mul_f32_dpp v198, v12, v198 row_newbcast:14 row_mask:0xf bank_mask:0xf// 0000000094A4: 0B8D8CFA FF015E0C
	v_mul_f32_dpp v199, v12, v199 row_newbcast:15 row_mask:0xf bank_mask:0xf// 0000000094AC: 0B8F8EFA FF015F0C
	v_mul_f32_e32 v196, v21, v196                              // 0000000094B4: 0B898915
	v_mul_f32_e32 v197, v21, v197                              // 0000000094B8: 0B8B8B15
	v_mul_f32_e32 v198, v21, v198                              // 0000000094BC: 0B8D8D15
	v_mul_f32_e32 v199, v21, v199                              // 0000000094C0: 0B8F8F15
	v_cmp_u_f32_e64 s[48:49], v168, v168                       // 0000000094C4: D0480030 000351A8
	v_add3_u32 v43, v168, v46, 1                               // 0000000094CC: D1FF002B 02065DA8
	v_cndmask_b32_e64 v50, v43, v45, s[48:49]                  // 0000000094D4: D1000032 00C25B2B
	v_cmp_u_f32_e64 s[48:49], v169, v169                       // 0000000094DC: D0480030 000353A9
	v_add3_u32 v43, v169, v46, 1                               // 0000000094E4: D1FF002B 02065DA9
	v_cndmask_b32_e64 v51, v43, v45, s[48:49]                  // 0000000094EC: D1000033 00C25B2B
	v_perm_b32 v168, v51, v50, s52                             // 0000000094F4: D1ED00A8 00D26533
	v_cmp_u_f32_e64 s[48:49], v170, v170                       // 0000000094FC: D0480030 000355AA
	v_add3_u32 v43, v170, v46, 1                               // 000000009504: D1FF002B 02065DAA
	v_cndmask_b32_e64 v50, v43, v45, s[48:49]                  // 00000000950C: D1000032 00C25B2B
	v_cmp_u_f32_e64 s[48:49], v171, v171                       // 000000009514: D0480030 000357AB
	v_add3_u32 v43, v171, v46, 1                               // 00000000951C: D1FF002B 02065DAB
	v_cndmask_b32_e64 v51, v43, v45, s[48:49]                  // 000000009524: D1000033 00C25B2B
	v_perm_b32 v169, v51, v50, s52                             // 00000000952C: D1ED00A9 00D26533
	v_cmp_u_f32_e64 s[48:49], v172, v172                       // 000000009534: D0480030 000359AC
	v_add3_u32 v43, v172, v46, 1                               // 00000000953C: D1FF002B 02065DAC
	v_cndmask_b32_e64 v50, v43, v45, s[48:49]                  // 000000009544: D1000032 00C25B2B
	v_cmp_u_f32_e64 s[48:49], v173, v173                       // 00000000954C: D0480030 00035BAD
	v_add3_u32 v43, v173, v46, 1                               // 000000009554: D1FF002B 02065DAD
	v_cndmask_b32_e64 v51, v43, v45, s[48:49]                  // 00000000955C: D1000033 00C25B2B
	v_perm_b32 v170, v51, v50, s52                             // 000000009564: D1ED00AA 00D26533
	v_cmp_u_f32_e64 s[48:49], v174, v174                       // 00000000956C: D0480030 00035DAE
	v_add3_u32 v43, v174, v46, 1                               // 000000009574: D1FF002B 02065DAE
	v_cndmask_b32_e64 v50, v43, v45, s[48:49]                  // 00000000957C: D1000032 00C25B2B
	v_cmp_u_f32_e64 s[48:49], v175, v175                       // 000000009584: D0480030 00035FAF
	v_add3_u32 v43, v175, v46, 1                               // 00000000958C: D1FF002B 02065DAF
	v_cndmask_b32_e64 v51, v43, v45, s[48:49]                  // 000000009594: D1000033 00C25B2B
	v_perm_b32 v171, v51, v50, s52                             // 00000000959C: D1ED00AB 00D26533
	v_cmp_u_f32_e64 s[48:49], v176, v176                       // 0000000095A4: D0480030 000361B0
	v_add3_u32 v43, v176, v46, 1                               // 0000000095AC: D1FF002B 02065DB0
	v_cndmask_b32_e64 v50, v43, v45, s[48:49]                  // 0000000095B4: D1000032 00C25B2B
	v_cmp_u_f32_e64 s[48:49], v177, v177                       // 0000000095BC: D0480030 000363B1
	v_add3_u32 v43, v177, v46, 1                               // 0000000095C4: D1FF002B 02065DB1
	v_cndmask_b32_e64 v51, v43, v45, s[48:49]                  // 0000000095CC: D1000033 00C25B2B
	v_perm_b32 v172, v51, v50, s52                             // 0000000095D4: D1ED00AC 00D26533
	v_cmp_u_f32_e64 s[48:49], v178, v178                       // 0000000095DC: D0480030 000365B2
	v_add3_u32 v43, v178, v46, 1                               // 0000000095E4: D1FF002B 02065DB2
	v_cndmask_b32_e64 v50, v43, v45, s[48:49]                  // 0000000095EC: D1000032 00C25B2B
	v_cmp_u_f32_e64 s[48:49], v179, v179                       // 0000000095F4: D0480030 000367B3
	v_add3_u32 v43, v179, v46, 1                               // 0000000095FC: D1FF002B 02065DB3
	v_cndmask_b32_e64 v51, v43, v45, s[48:49]                  // 000000009604: D1000033 00C25B2B
	v_perm_b32 v173, v51, v50, s52                             // 00000000960C: D1ED00AD 00D26533
	v_cmp_u_f32_e64 s[48:49], v180, v180                       // 000000009614: D0480030 000369B4
	v_add3_u32 v43, v180, v46, 1                               // 00000000961C: D1FF002B 02065DB4
	v_cndmask_b32_e64 v50, v43, v45, s[48:49]                  // 000000009624: D1000032 00C25B2B
	v_cmp_u_f32_e64 s[48:49], v181, v181                       // 00000000962C: D0480030 00036BB5
	v_add3_u32 v43, v181, v46, 1                               // 000000009634: D1FF002B 02065DB5
	v_cndmask_b32_e64 v51, v43, v45, s[48:49]                  // 00000000963C: D1000033 00C25B2B
	v_perm_b32 v174, v51, v50, s52                             // 000000009644: D1ED00AE 00D26533
	v_cmp_u_f32_e64 s[48:49], v182, v182                       // 00000000964C: D0480030 00036DB6
	v_add3_u32 v43, v182, v46, 1                               // 000000009654: D1FF002B 02065DB6
	v_cndmask_b32_e64 v50, v43, v45, s[48:49]                  // 00000000965C: D1000032 00C25B2B
	v_cmp_u_f32_e64 s[48:49], v183, v183                       // 000000009664: D0480030 00036FB7
	v_add3_u32 v43, v183, v46, 1                               // 00000000966C: D1FF002B 02065DB7
	v_cndmask_b32_e64 v51, v43, v45, s[48:49]                  // 000000009674: D1000033 00C25B2B
	v_perm_b32 v175, v51, v50, s52                             // 00000000967C: D1ED00AF 00D26533
	v_cmp_u_f32_e64 s[48:49], v184, v184                       // 000000009684: D0480030 000371B8
	v_add3_u32 v43, v184, v46, 1                               // 00000000968C: D1FF002B 02065DB8
	v_cndmask_b32_e64 v50, v43, v45, s[48:49]                  // 000000009694: D1000032 00C25B2B
	v_cmp_u_f32_e64 s[48:49], v185, v185                       // 00000000969C: D0480030 000373B9
	v_add3_u32 v43, v185, v46, 1                               // 0000000096A4: D1FF002B 02065DB9
	v_cndmask_b32_e64 v51, v43, v45, s[48:49]                  // 0000000096AC: D1000033 00C25B2B
	v_perm_b32 v176, v51, v50, s52                             // 0000000096B4: D1ED00B0 00D26533
	v_cmp_u_f32_e64 s[48:49], v186, v186                       // 0000000096BC: D0480030 000375BA
	v_add3_u32 v43, v186, v46, 1                               // 0000000096C4: D1FF002B 02065DBA
	v_cndmask_b32_e64 v50, v43, v45, s[48:49]                  // 0000000096CC: D1000032 00C25B2B
	v_cmp_u_f32_e64 s[48:49], v187, v187                       // 0000000096D4: D0480030 000377BB
	v_add3_u32 v43, v187, v46, 1                               // 0000000096DC: D1FF002B 02065DBB
	v_cndmask_b32_e64 v51, v43, v45, s[48:49]                  // 0000000096E4: D1000033 00C25B2B
	v_perm_b32 v177, v51, v50, s52                             // 0000000096EC: D1ED00B1 00D26533
	v_cmp_u_f32_e64 s[48:49], v188, v188                       // 0000000096F4: D0480030 000379BC
	v_add3_u32 v43, v188, v46, 1                               // 0000000096FC: D1FF002B 02065DBC
	v_cndmask_b32_e64 v50, v43, v45, s[48:49]                  // 000000009704: D1000032 00C25B2B
	v_cmp_u_f32_e64 s[48:49], v189, v189                       // 00000000970C: D0480030 00037BBD
	v_add3_u32 v43, v189, v46, 1                               // 000000009714: D1FF002B 02065DBD
	v_cndmask_b32_e64 v51, v43, v45, s[48:49]                  // 00000000971C: D1000033 00C25B2B
	v_perm_b32 v178, v51, v50, s52                             // 000000009724: D1ED00B2 00D26533
	v_cmp_u_f32_e64 s[48:49], v190, v190                       // 00000000972C: D0480030 00037DBE
	v_add3_u32 v43, v190, v46, 1                               // 000000009734: D1FF002B 02065DBE
	v_cndmask_b32_e64 v50, v43, v45, s[48:49]                  // 00000000973C: D1000032 00C25B2B
	v_cmp_u_f32_e64 s[48:49], v191, v191                       // 000000009744: D0480030 00037FBF
	v_add3_u32 v43, v191, v46, 1                               // 00000000974C: D1FF002B 02065DBF
	v_cndmask_b32_e64 v51, v43, v45, s[48:49]                  // 000000009754: D1000033 00C25B2B
	v_perm_b32 v179, v51, v50, s52                             // 00000000975C: D1ED00B3 00D26533
	v_cmp_u_f32_e64 s[48:49], v192, v192                       // 000000009764: D0480030 000381C0
	v_add3_u32 v43, v192, v46, 1                               // 00000000976C: D1FF002B 02065DC0
	v_cndmask_b32_e64 v50, v43, v45, s[48:49]                  // 000000009774: D1000032 00C25B2B
	v_cmp_u_f32_e64 s[48:49], v193, v193                       // 00000000977C: D0480030 000383C1
	v_add3_u32 v43, v193, v46, 1                               // 000000009784: D1FF002B 02065DC1
	v_cndmask_b32_e64 v51, v43, v45, s[48:49]                  // 00000000978C: D1000033 00C25B2B
	v_perm_b32 v180, v51, v50, s52                             // 000000009794: D1ED00B4 00D26533
	v_cmp_u_f32_e64 s[48:49], v194, v194                       // 00000000979C: D0480030 000385C2
	v_add3_u32 v43, v194, v46, 1                               // 0000000097A4: D1FF002B 02065DC2
	v_cndmask_b32_e64 v50, v43, v45, s[48:49]                  // 0000000097AC: D1000032 00C25B2B
	v_cmp_u_f32_e64 s[48:49], v195, v195                       // 0000000097B4: D0480030 000387C3
	v_add3_u32 v43, v195, v46, 1                               // 0000000097BC: D1FF002B 02065DC3
	v_cndmask_b32_e64 v51, v43, v45, s[48:49]                  // 0000000097C4: D1000033 00C25B2B
	v_perm_b32 v181, v51, v50, s52                             // 0000000097CC: D1ED00B5 00D26533
	v_cmp_u_f32_e64 s[48:49], v196, v196                       // 0000000097D4: D0480030 000389C4
	v_add3_u32 v43, v196, v46, 1                               // 0000000097DC: D1FF002B 02065DC4
	v_cndmask_b32_e64 v50, v43, v45, s[48:49]                  // 0000000097E4: D1000032 00C25B2B
	v_cmp_u_f32_e64 s[48:49], v197, v197                       // 0000000097EC: D0480030 00038BC5
	v_add3_u32 v43, v197, v46, 1                               // 0000000097F4: D1FF002B 02065DC5
	v_cndmask_b32_e64 v51, v43, v45, s[48:49]                  // 0000000097FC: D1000033 00C25B2B
	v_perm_b32 v182, v51, v50, s52                             // 000000009804: D1ED00B6 00D26533
	v_cmp_u_f32_e64 s[48:49], v198, v198                       // 00000000980C: D0480030 00038DC6
	v_add3_u32 v43, v198, v46, 1                               // 000000009814: D1FF002B 02065DC6
	v_cndmask_b32_e64 v50, v43, v45, s[48:49]                  // 00000000981C: D1000032 00C25B2B
	v_cmp_u_f32_e64 s[48:49], v199, v199                       // 000000009824: D0480030 00038FC7
	v_add3_u32 v43, v199, v46, 1                               // 00000000982C: D1FF002B 02065DC7
	v_cndmask_b32_e64 v51, v43, v45, s[48:49]                  // 000000009834: D1000033 00C25B2B
	v_perm_b32 v183, v51, v50, s52                             // 00000000983C: D1ED00B7 00D26533
	ds_write_b64 v3, v[168:169] offset:28928                   // 000000009844: D89A7100 0000A803
	ds_write_b64 v3, v[170:171] offset:37632                   // 00000000984C: D89A9300 0000AA03
	ds_write_b64 v3, v[172:173] offset:31104                   // 000000009854: D89A7980 0000AC03
	ds_write_b64 v3, v[174:175] offset:39808                   // 00000000985C: D89A9B80 0000AE03
	ds_write_b64 v3, v[176:177] offset:33280                   // 000000009864: D89A8200 0000B003
	ds_write_b64 v3, v[178:179] offset:41984                   // 00000000986C: D89AA400 0000B203
	ds_write_b64 v3, v[180:181] offset:35456                   // 000000009874: D89A8A80 0000B403
	ds_write_b64 v3, v[182:183] offset:44160                   // 00000000987C: D89AAC80 0000B603
	s_waitcnt lgkmcnt(0)                                       // 000000009884: BF8CC07F
	s_barrier                                                  // 000000009888: BF8A0000
	ds_read_b32 v64, v4 offset:28928                           // 00000000988C: D86C7100 40000004
	ds_read_b32 v65, v4 offset:33280                           // 000000009894: D86C8200 41000004
	ds_read_b32 v66, v4 offset:28960                           // 00000000989C: D86C7120 42000004
	ds_read_b32 v67, v4 offset:33312                           // 0000000098A4: D86C8220 43000004
	ds_read_b32 v68, v4 offset:28992                           // 0000000098AC: D86C7140 44000004
	ds_read_b32 v69, v4 offset:33344                           // 0000000098B4: D86C8240 45000004
	ds_read_b32 v70, v4 offset:29024                           // 0000000098BC: D86C7160 46000004
	ds_read_b32 v71, v4 offset:33376                           // 0000000098C4: D86C8260 47000004
	ds_read_b32 v72, v4 offset:37632                           // 0000000098CC: D86C9300 48000004
	ds_read_b32 v73, v4 offset:41984                           // 0000000098D4: D86CA400 49000004
	ds_read_b32 v74, v4 offset:37664                           // 0000000098DC: D86C9320 4A000004
	ds_read_b32 v75, v4 offset:42016                           // 0000000098E4: D86CA420 4B000004
	ds_read_b32 v76, v4 offset:37696                           // 0000000098EC: D86C9340 4C000004
	ds_read_b32 v77, v4 offset:42048                           // 0000000098F4: D86CA440 4D000004
	ds_read_b32 v78, v4 offset:37728                           // 0000000098FC: D86C9360 4E000004
	ds_read_b32 v79, v4 offset:42080                           // 000000009904: D86CA460 4F000004
	s_waitcnt lgkmcnt(0)                                       // 00000000990C: BF8CC07F
	s_mov_b64 exec, s[20:21]                                   // 000000009910: BEFE0114
	global_atomic_pk_add_bf16 v80, v64, s[8:9]                 // 000000009914: DD488000 00084050
	s_mov_b64 exec, s[36:37]                                   // 00000000991C: BEFE0124
	s_mov_b64 exec, s[20:21]                                   // 000000009920: BEFE0114
	global_atomic_pk_add_bf16 v80, v65, s[8:9] offset:256      // 000000009924: DD488100 00084150
	s_mov_b64 exec, s[36:37]                                   // 00000000992C: BEFE0124
	s_mov_b64 exec, s[22:23]                                   // 000000009930: BEFE0116
	global_atomic_pk_add_bf16 v82, v66, s[8:9]                 // 000000009934: DD488000 00084252
	s_mov_b64 exec, s[36:37]                                   // 00000000993C: BEFE0124
	s_mov_b64 exec, s[22:23]                                   // 000000009940: BEFE0116
	global_atomic_pk_add_bf16 v82, v67, s[8:9] offset:256      // 000000009944: DD488100 00084352
	s_mov_b64 exec, s[36:37]                                   // 00000000994C: BEFE0124
	s_mov_b64 exec, s[24:25]                                   // 000000009950: BEFE0118
	global_atomic_pk_add_bf16 v84, v68, s[8:9]                 // 000000009954: DD488000 00084454
	s_mov_b64 exec, s[36:37]                                   // 00000000995C: BEFE0124
	s_mov_b64 exec, s[24:25]                                   // 000000009960: BEFE0118
	global_atomic_pk_add_bf16 v84, v69, s[8:9] offset:256      // 000000009964: DD488100 00084554
	s_mov_b64 exec, s[36:37]                                   // 00000000996C: BEFE0124
	s_mov_b64 exec, s[26:27]                                   // 000000009970: BEFE011A
	global_atomic_pk_add_bf16 v86, v70, s[8:9]                 // 000000009974: DD488000 00084656
	s_mov_b64 exec, s[36:37]                                   // 00000000997C: BEFE0124
	s_mov_b64 exec, s[26:27]                                   // 000000009980: BEFE011A
	global_atomic_pk_add_bf16 v86, v71, s[8:9] offset:256      // 000000009984: DD488100 00084756
	s_mov_b64 exec, s[36:37]                                   // 00000000998C: BEFE0124
	s_mov_b64 exec, s[28:29]                                   // 000000009990: BEFE011C
	global_atomic_pk_add_bf16 v88, v72, s[8:9]                 // 000000009994: DD488000 00084858
	s_mov_b64 exec, s[36:37]                                   // 00000000999C: BEFE0124
	s_mov_b64 exec, s[28:29]                                   // 0000000099A0: BEFE011C
	global_atomic_pk_add_bf16 v88, v73, s[8:9] offset:256      // 0000000099A4: DD488100 00084958
	s_mov_b64 exec, s[36:37]                                   // 0000000099AC: BEFE0124
	s_mov_b64 exec, s[30:31]                                   // 0000000099B0: BEFE011E
	global_atomic_pk_add_bf16 v90, v74, s[8:9]                 // 0000000099B4: DD488000 00084A5A
	s_mov_b64 exec, s[36:37]                                   // 0000000099BC: BEFE0124
	s_mov_b64 exec, s[30:31]                                   // 0000000099C0: BEFE011E
	global_atomic_pk_add_bf16 v90, v75, s[8:9] offset:256      // 0000000099C4: DD488100 00084B5A
	s_mov_b64 exec, s[36:37]                                   // 0000000099CC: BEFE0124
	s_mov_b64 exec, s[32:33]                                   // 0000000099D0: BEFE0120
	global_atomic_pk_add_bf16 v92, v76, s[8:9]                 // 0000000099D4: DD488000 00084C5C
	s_mov_b64 exec, s[36:37]                                   // 0000000099DC: BEFE0124
	s_mov_b64 exec, s[32:33]                                   // 0000000099E0: BEFE0120
	global_atomic_pk_add_bf16 v92, v77, s[8:9] offset:256      // 0000000099E4: DD488100 00084D5C
	s_mov_b64 exec, s[36:37]                                   // 0000000099EC: BEFE0124
	s_mov_b64 exec, s[34:35]                                   // 0000000099F0: BEFE0122
	global_atomic_pk_add_bf16 v94, v78, s[8:9]                 // 0000000099F4: DD488000 00084E5E
	s_mov_b64 exec, s[36:37]                                   // 0000000099FC: BEFE0124
	s_mov_b64 exec, s[34:35]                                   // 000000009A00: BEFE0122
	global_atomic_pk_add_bf16 v94, v79, s[8:9] offset:256      // 000000009A04: DD488100 00084F5E
	s_mov_b64 exec, s[36:37]                                   // 000000009A0C: BEFE0124
	s_add_u32 s8, s59, s8                                      // 000000009A10: 8008083B
	s_addc_u32 s9, 0, s9                                       // 000000009A14: 82090980
	s_addk_i32 s80, 0x100                                      // 000000009A18: B7500100
	s_cmp_lt_i32 s80, s81                                      // 000000009A1C: BF045150
	s_cbranch_scc0 label_1036                                  // 000000009A20: BF84F52D
	s_waitcnt vmcnt(33)                                        // 000000009A24: BF8C8F71
	s_barrier                                                  // 000000009A28: BF8A0000
	v_mfma_f32_16x16x32_fp8_fp8 v[200:203], a[80:81], v[128:129], 0// 000000009A2C: D3F300C8 0A030150
	buffer_load_dwordx4 a[0:3], v39, s[12:15], 0 offen         // 000000009A34: E05C1000 80830027
	v_mfma_f32_16x16x32_fp8_fp8 v[200:203], a[82:83], v[130:131], v[200:203]// 000000009A3C: D3F300C8 0F230552
	v_mfma_f32_16x16x32_fp8_fp8 v[204:207], a[80:81], v[148:149], 0// 000000009A44: D3F300CC 0A032950
	v_mfma_f32_16x16x32_fp8_fp8 v[204:207], a[82:83], v[150:151], v[204:207]// 000000009A4C: D3F300CC 0F332D52
	v_mfma_f32_16x16x32_fp8_fp8 v[208:211], a[84:85], v[128:129], 0// 000000009A54: D3F300D0 0A030154
	buffer_load_dwordx4 a[4:7], v40, s[12:15], 0 offen         // 000000009A5C: E05C1000 80830428
	v_mfma_f32_16x16x32_fp8_fp8 v[208:211], a[86:87], v[130:131], v[208:211]// 000000009A64: D3F300D0 0F430556
	v_mfma_f32_16x16x32_fp8_fp8 v[212:215], a[84:85], v[148:149], 0// 000000009A6C: D3F300D4 0A032954
	v_mfma_f32_16x16x32_fp8_fp8 v[212:215], a[86:87], v[150:151], v[212:215]// 000000009A74: D3F300D4 0F532D56
	v_mfma_f32_16x16x32_fp8_fp8 v[216:219], a[88:89], v[128:129], 0// 000000009A7C: D3F300D8 0A030158
	buffer_load_dwordx4 a[8:11], v41, s[12:15], 0 offen        // 000000009A84: E05C1000 80830829
	v_mfma_f32_16x16x32_fp8_fp8 v[216:219], a[90:91], v[130:131], v[216:219]// 000000009A8C: D3F300D8 0F63055A
	v_mfma_f32_16x16x32_fp8_fp8 v[220:223], a[88:89], v[148:149], 0// 000000009A94: D3F300DC 0A032958
	v_mfma_f32_16x16x32_fp8_fp8 v[220:223], a[90:91], v[150:151], v[220:223]// 000000009A9C: D3F300DC 0F732D5A
	v_mfma_f32_16x16x32_fp8_fp8 v[224:227], a[92:93], v[128:129], 0// 000000009AA4: D3F300E0 0A03015C
	buffer_load_dwordx4 a[12:15], v42, s[12:15], 0 offen       // 000000009AAC: E05C1000 80830C2A
	s_add_u32 s12, s78, s12                                    // 000000009AB4: 800C0C4E
	s_addc_u32 s13, 0, s13                                     // 000000009AB8: 820D0D80
	v_mfma_f32_16x16x32_fp8_fp8 v[224:227], a[94:95], v[130:131], v[224:227]// 000000009ABC: D3F300E0 0F83055E
	v_mfma_f32_16x16x32_fp8_fp8 v[228:231], a[92:93], v[148:149], 0// 000000009AC4: D3F300E4 0A03295C
	v_mfma_f32_16x16x32_fp8_fp8 v[228:231], a[94:95], v[150:151], v[228:231]// 000000009ACC: D3F300E4 0F932D5E
	s_waitcnt vmcnt(33)                                        // 000000009AD4: BF8C8F71
	v_mfma_f32_16x16x32_fp8_fp8 v[200:203], a[96:97], v[132:133], v[200:203]// 000000009AD8: D3F300C8 0F230960
	buffer_load_dwordx4 a[16:19], v39, s[12:15], 0 offen       // 000000009AE0: E05C1000 80831027
	v_mfma_f32_16x16x32_fp8_fp8 v[200:203], a[98:99], v[134:135], v[200:203]// 000000009AE8: D3F300C8 0F230D62
	v_mfma_f32_16x16x32_fp8_fp8 v[204:207], a[96:97], v[152:153], v[204:207]// 000000009AF0: D3F300CC 0F333160
	v_mfma_f32_16x16x32_fp8_fp8 v[204:207], a[98:99], v[154:155], v[204:207]// 000000009AF8: D3F300CC 0F333562
	v_mfma_f32_16x16x32_fp8_fp8 v[208:211], a[100:101], v[132:133], v[208:211]// 000000009B00: D3F300D0 0F430964
	buffer_load_dwordx4 a[20:23], v40, s[12:15], 0 offen       // 000000009B08: E05C1000 80831428
	v_mfma_f32_16x16x32_fp8_fp8 v[208:211], a[102:103], v[134:135], v[208:211]// 000000009B10: D3F300D0 0F430D66
	v_mfma_f32_16x16x32_fp8_fp8 v[212:215], a[100:101], v[152:153], v[212:215]// 000000009B18: D3F300D4 0F533164
	v_mfma_f32_16x16x32_fp8_fp8 v[212:215], a[102:103], v[154:155], v[212:215]// 000000009B20: D3F300D4 0F533566
	v_mfma_f32_16x16x32_fp8_fp8 v[216:219], a[104:105], v[132:133], v[216:219]// 000000009B28: D3F300D8 0F630968
	buffer_load_dwordx4 a[24:27], v41, s[12:15], 0 offen       // 000000009B30: E05C1000 80831829
	v_mfma_f32_16x16x32_fp8_fp8 v[216:219], a[106:107], v[134:135], v[216:219]// 000000009B38: D3F300D8 0F630D6A
	v_mfma_f32_16x16x32_fp8_fp8 v[220:223], a[104:105], v[152:153], v[220:223]// 000000009B40: D3F300DC 0F733168
	v_mfma_f32_16x16x32_fp8_fp8 v[220:223], a[106:107], v[154:155], v[220:223]// 000000009B48: D3F300DC 0F73356A
	v_mfma_f32_16x16x32_fp8_fp8 v[224:227], a[108:109], v[132:133], v[224:227]// 000000009B50: D3F300E0 0F83096C
	buffer_load_dwordx4 a[28:31], v42, s[12:15], 0 offen       // 000000009B58: E05C1000 80831C2A
	s_add_u32 s12, s78, s12                                    // 000000009B60: 800C0C4E
	s_addc_u32 s13, 0, s13                                     // 000000009B64: 820D0D80
	v_mfma_f32_16x16x32_fp8_fp8 v[224:227], a[110:111], v[134:135], v[224:227]// 000000009B68: D3F300E0 0F830D6E
	v_mfma_f32_16x16x32_fp8_fp8 v[228:231], a[108:109], v[152:153], v[228:231]// 000000009B70: D3F300E4 0F93316C
	v_mfma_f32_16x16x32_fp8_fp8 v[228:231], a[110:111], v[154:155], v[228:231]// 000000009B78: D3F300E4 0F93356E
	s_waitcnt vmcnt(33)                                        // 000000009B80: BF8C8F71
	v_mfma_f32_16x16x32_fp8_fp8 v[200:203], a[112:113], v[136:137], v[200:203]// 000000009B84: D3F300C8 0F231170
	buffer_load_dwordx4 a[32:35], v39, s[12:15], 0 offen       // 000000009B8C: E05C1000 80832027
	v_mfma_f32_16x16x32_fp8_fp8 v[200:203], a[114:115], v[138:139], v[200:203]// 000000009B94: D3F300C8 0F231572
	v_mfma_f32_16x16x32_fp8_fp8 v[204:207], a[112:113], v[156:157], v[204:207]// 000000009B9C: D3F300CC 0F333970
	v_mfma_f32_16x16x32_fp8_fp8 v[204:207], a[114:115], v[158:159], v[204:207]// 000000009BA4: D3F300CC 0F333D72
	v_mfma_f32_16x16x32_fp8_fp8 v[208:211], a[116:117], v[136:137], v[208:211]// 000000009BAC: D3F300D0 0F431174
	buffer_load_dwordx4 a[36:39], v40, s[12:15], 0 offen       // 000000009BB4: E05C1000 80832428
	v_mfma_f32_16x16x32_fp8_fp8 v[208:211], a[118:119], v[138:139], v[208:211]// 000000009BBC: D3F300D0 0F431576
	v_mfma_f32_16x16x32_fp8_fp8 v[212:215], a[116:117], v[156:157], v[212:215]// 000000009BC4: D3F300D4 0F533974
	v_mfma_f32_16x16x32_fp8_fp8 v[212:215], a[118:119], v[158:159], v[212:215]// 000000009BCC: D3F300D4 0F533D76
	v_mfma_f32_16x16x32_fp8_fp8 v[216:219], a[120:121], v[136:137], v[216:219]// 000000009BD4: D3F300D8 0F631178
	buffer_load_dwordx4 a[40:43], v41, s[12:15], 0 offen       // 000000009BDC: E05C1000 80832829
	v_mfma_f32_16x16x32_fp8_fp8 v[216:219], a[122:123], v[138:139], v[216:219]// 000000009BE4: D3F300D8 0F63157A
	v_mfma_f32_16x16x32_fp8_fp8 v[220:223], a[120:121], v[156:157], v[220:223]// 000000009BEC: D3F300DC 0F733978
	v_mfma_f32_16x16x32_fp8_fp8 v[220:223], a[122:123], v[158:159], v[220:223]// 000000009BF4: D3F300DC 0F733D7A
	v_mfma_f32_16x16x32_fp8_fp8 v[224:227], a[124:125], v[136:137], v[224:227]// 000000009BFC: D3F300E0 0F83117C
	buffer_load_dwordx4 a[44:47], v42, s[12:15], 0 offen       // 000000009C04: E05C1000 80832C2A
	s_add_u32 s12, s78, s12                                    // 000000009C0C: 800C0C4E
	s_addc_u32 s13, 0, s13                                     // 000000009C10: 820D0D80
	v_mfma_f32_16x16x32_fp8_fp8 v[224:227], a[126:127], v[138:139], v[224:227]// 000000009C14: D3F300E0 0F83157E
	v_mfma_f32_16x16x32_fp8_fp8 v[228:231], a[124:125], v[156:157], v[228:231]// 000000009C1C: D3F300E4 0F93397C
	v_mfma_f32_16x16x32_fp8_fp8 v[228:231], a[126:127], v[158:159], v[228:231]// 000000009C24: D3F300E4 0F933D7E
	s_waitcnt vmcnt(33)                                        // 000000009C2C: BF8C8F71
	v_mfma_f32_16x16x32_fp8_fp8 v[200:203], a[128:129], v[140:141], v[200:203]// 000000009C30: D3F300C8 0F231980
	buffer_load_dwordx4 a[48:51], v39, s[12:15], 0 offen       // 000000009C38: E05C1000 80833027
	v_mfma_f32_16x16x32_fp8_fp8 v[200:203], a[130:131], v[142:143], v[200:203]// 000000009C40: D3F300C8 0F231D82
	v_mfma_f32_16x16x32_fp8_fp8 v[204:207], a[128:129], v[160:161], v[204:207]// 000000009C48: D3F300CC 0F334180
	v_mfma_f32_16x16x32_fp8_fp8 v[204:207], a[130:131], v[162:163], v[204:207]// 000000009C50: D3F300CC 0F334582
	v_mfma_f32_16x16x32_fp8_fp8 v[208:211], a[132:133], v[140:141], v[208:211]// 000000009C58: D3F300D0 0F431984
	buffer_load_dwordx4 a[52:55], v40, s[12:15], 0 offen       // 000000009C60: E05C1000 80833428
	v_mfma_f32_16x16x32_fp8_fp8 v[208:211], a[134:135], v[142:143], v[208:211]// 000000009C68: D3F300D0 0F431D86
	v_mfma_f32_16x16x32_fp8_fp8 v[212:215], a[132:133], v[160:161], v[212:215]// 000000009C70: D3F300D4 0F534184
	v_mfma_f32_16x16x32_fp8_fp8 v[212:215], a[134:135], v[162:163], v[212:215]// 000000009C78: D3F300D4 0F534586
	v_mfma_f32_16x16x32_fp8_fp8 v[216:219], a[136:137], v[140:141], v[216:219]// 000000009C80: D3F300D8 0F631988
	buffer_load_dwordx4 a[56:59], v41, s[12:15], 0 offen       // 000000009C88: E05C1000 80833829
	v_mfma_f32_16x16x32_fp8_fp8 v[216:219], a[138:139], v[142:143], v[216:219]// 000000009C90: D3F300D8 0F631D8A
	v_mfma_f32_16x16x32_fp8_fp8 v[220:223], a[136:137], v[160:161], v[220:223]// 000000009C98: D3F300DC 0F734188
	v_mfma_f32_16x16x32_fp8_fp8 v[220:223], a[138:139], v[162:163], v[220:223]// 000000009CA0: D3F300DC 0F73458A
	v_mfma_f32_16x16x32_fp8_fp8 v[224:227], a[140:141], v[140:141], v[224:227]// 000000009CA8: D3F300E0 0F83198C
	buffer_load_dwordx4 a[60:63], v42, s[12:15], 0 offen       // 000000009CB0: E05C1000 80833C2A
	s_add_u32 s12, s78, s12                                    // 000000009CB8: 800C0C4E
	s_addc_u32 s13, 0, s13                                     // 000000009CBC: 820D0D80
	v_mfma_f32_16x16x32_fp8_fp8 v[224:227], a[142:143], v[142:143], v[224:227]// 000000009CC0: D3F300E0 0F831D8E
	v_mfma_f32_16x16x32_fp8_fp8 v[228:231], a[140:141], v[160:161], v[228:231]// 000000009CC8: D3F300E4 0F93418C
	v_mfma_f32_16x16x32_fp8_fp8 v[228:231], a[142:143], v[162:163], v[228:231]// 000000009CD0: D3F300E4 0F93458E
	s_waitcnt vmcnt(32)                                        // 000000009CD8: BF8C8F70
	v_mfma_f32_16x16x32_fp8_fp8 v[200:203], a[144:145], v[144:145], v[200:203]// 000000009CDC: D3F300C8 0F232190
	buffer_load_dwordx4 a[64:67], v39, s[12:15], 0 offen       // 000000009CE4: E05C1000 80834027
	v_mfma_f32_16x16x32_fp8_fp8 v[200:203], a[146:147], v[146:147], v[200:203]// 000000009CEC: D3F300C8 0F232592
	v_mfma_f32_16x16x32_fp8_fp8 v[204:207], a[144:145], v[164:165], v[204:207]// 000000009CF4: D3F300CC 0F334990
	buffer_load_dword v12, v5, s[16:19], 0 offen               // 000000009CFC: E0501000 80040C05
	v_mfma_f32_16x16x32_fp8_fp8 v[204:207], a[146:147], v[166:167], v[204:207]// 000000009D04: D3F300CC 0F334D92
	v_mfma_f32_16x16x32_fp8_fp8 v[208:211], a[148:149], v[144:145], v[208:211]// 000000009D0C: D3F300D0 0F432194
	buffer_load_dwordx4 a[68:71], v40, s[12:15], 0 offen       // 000000009D14: E05C1000 80834428
	v_mfma_f32_16x16x32_fp8_fp8 v[208:211], a[150:151], v[146:147], v[208:211]// 000000009D1C: D3F300D0 0F432596
	v_mfma_f32_16x16x32_fp8_fp8 v[212:215], a[148:149], v[164:165], v[212:215]// 000000009D24: D3F300D4 0F534994
	v_mfma_f32_16x16x32_fp8_fp8 v[212:215], a[150:151], v[166:167], v[212:215]// 000000009D2C: D3F300D4 0F534D96
	v_mfma_f32_16x16x32_fp8_fp8 v[216:219], a[152:153], v[144:145], v[216:219]// 000000009D34: D3F300D8 0F632198
	buffer_load_dwordx4 a[72:75], v41, s[12:15], 0 offen       // 000000009D3C: E05C1000 80834829
	v_mfma_f32_16x16x32_fp8_fp8 v[216:219], a[154:155], v[146:147], v[216:219]// 000000009D44: D3F300D8 0F63259A
	v_mfma_f32_16x16x32_fp8_fp8 v[220:223], a[152:153], v[164:165], v[220:223]// 000000009D4C: D3F300DC 0F734998
	v_mfma_f32_16x16x32_fp8_fp8 v[220:223], a[154:155], v[166:167], v[220:223]// 000000009D54: D3F300DC 0F734D9A
	v_mfma_f32_16x16x32_fp8_fp8 v[224:227], a[156:157], v[144:145], v[224:227]// 000000009D5C: D3F300E0 0F83219C
	buffer_load_dwordx4 a[76:79], v42, s[12:15], 0 offen       // 000000009D64: E05C1000 80834C2A
	v_mfma_f32_16x16x32_fp8_fp8 v[224:227], a[158:159], v[146:147], v[224:227]// 000000009D6C: D3F300E0 0F83259E
	v_mfma_f32_16x16x32_fp8_fp8 v[228:231], a[156:157], v[164:165], v[228:231]// 000000009D74: D3F300E4 0F93499C
	v_mfma_f32_16x16x32_fp8_fp8 v[228:231], a[158:159], v[166:167], v[228:231]// 000000009D7C: D3F300E4 0F934D9E
	s_add_u32 s60, 0x200, s80                                  // 000000009D84: 803C50FF 00000200
	s_cmp_lt_u32 s60, s81                                      // 000000009D8C: BF0A513C
	s_cselect_b32 s56, s56, 0                                  // 000000009D90: 85388038
	s_cselect_b32 s78, s78, 0                                  // 000000009D94: 854E804E
	s_cselect_b32 s79, s79, 0                                  // 000000009D98: 854F804F
	s_add_u32 s12, s56, s12                                    // 000000009D9C: 800C0C38
	s_addc_u32 s13, 0, s13                                     // 000000009DA0: 820D0D80
	s_add_u32 s16, s79, s16                                    // 000000009DA4: 8010104F
	s_addc_u32 s17, 0, s17                                     // 000000009DA8: 82111180
	v_mul_f32_e32 v200, v24, v200                              // 000000009DAC: 0B919118
	v_mul_f32_e32 v201, v24, v201                              // 000000009DB0: 0B939318
	v_mul_f32_e32 v202, v24, v202                              // 000000009DB4: 0B959518
	v_mul_f32_e32 v203, v24, v203                              // 000000009DB8: 0B979718
	v_mul_f32_dpp v200, v13, v200 row_newbcast:0 row_mask:0xf bank_mask:0xf// 000000009DBC: 0B9190FA FF01500D
	v_mul_f32_dpp v201, v13, v201 row_newbcast:1 row_mask:0xf bank_mask:0xf// 000000009DC4: 0B9392FA FF01510D
	v_mul_f32_dpp v202, v13, v202 row_newbcast:2 row_mask:0xf bank_mask:0xf// 000000009DCC: 0B9594FA FF01520D
	v_mul_f32_dpp v203, v13, v203 row_newbcast:3 row_mask:0xf bank_mask:0xf// 000000009DD4: 0B9796FA FF01530D
	v_mul_f32_e32 v200, v20, v200                              // 000000009DDC: 0B919114
	v_mul_f32_e32 v201, v20, v201                              // 000000009DE0: 0B939314
	v_mul_f32_e32 v202, v20, v202                              // 000000009DE4: 0B959514
	v_mul_f32_e32 v203, v20, v203                              // 000000009DE8: 0B979714
	v_mul_f32_e32 v204, v25, v204                              // 000000009DEC: 0B999919
	v_mul_f32_e32 v205, v25, v205                              // 000000009DF0: 0B9B9B19
	v_mul_f32_e32 v206, v25, v206                              // 000000009DF4: 0B9D9D19
	v_mul_f32_e32 v207, v25, v207                              // 000000009DF8: 0B9F9F19
	v_mul_f32_dpp v204, v13, v204 row_newbcast:0 row_mask:0xf bank_mask:0xf// 000000009DFC: 0B9998FA FF01500D
	v_mul_f32_dpp v205, v13, v205 row_newbcast:1 row_mask:0xf bank_mask:0xf// 000000009E04: 0B9B9AFA FF01510D
	v_mul_f32_dpp v206, v13, v206 row_newbcast:2 row_mask:0xf bank_mask:0xf// 000000009E0C: 0B9D9CFA FF01520D
	v_mul_f32_dpp v207, v13, v207 row_newbcast:3 row_mask:0xf bank_mask:0xf// 000000009E14: 0B9F9EFA FF01530D
	v_mul_f32_e32 v204, v21, v204                              // 000000009E1C: 0B999915
	v_mul_f32_e32 v205, v21, v205                              // 000000009E20: 0B9B9B15
	v_mul_f32_e32 v206, v21, v206                              // 000000009E24: 0B9D9D15
	v_mul_f32_e32 v207, v21, v207                              // 000000009E28: 0B9F9F15
	v_mul_f32_e32 v208, v24, v208                              // 000000009E2C: 0BA1A118
	v_mul_f32_e32 v209, v24, v209                              // 000000009E30: 0BA3A318
	v_mul_f32_e32 v210, v24, v210                              // 000000009E34: 0BA5A518
	v_mul_f32_e32 v211, v24, v211                              // 000000009E38: 0BA7A718
	v_mul_f32_dpp v208, v13, v208 row_newbcast:4 row_mask:0xf bank_mask:0xf// 000000009E3C: 0BA1A0FA FF01540D
	v_mul_f32_dpp v209, v13, v209 row_newbcast:5 row_mask:0xf bank_mask:0xf// 000000009E44: 0BA3A2FA FF01550D
	v_mul_f32_dpp v210, v13, v210 row_newbcast:6 row_mask:0xf bank_mask:0xf// 000000009E4C: 0BA5A4FA FF01560D
	v_mul_f32_dpp v211, v13, v211 row_newbcast:7 row_mask:0xf bank_mask:0xf// 000000009E54: 0BA7A6FA FF01570D
	v_mul_f32_e32 v208, v20, v208                              // 000000009E5C: 0BA1A114
	v_mul_f32_e32 v209, v20, v209                              // 000000009E60: 0BA3A314
	v_mul_f32_e32 v210, v20, v210                              // 000000009E64: 0BA5A514
	v_mul_f32_e32 v211, v20, v211                              // 000000009E68: 0BA7A714
	v_mul_f32_e32 v212, v25, v212                              // 000000009E6C: 0BA9A919
	v_mul_f32_e32 v213, v25, v213                              // 000000009E70: 0BABAB19
	v_mul_f32_e32 v214, v25, v214                              // 000000009E74: 0BADAD19
	v_mul_f32_e32 v215, v25, v215                              // 000000009E78: 0BAFAF19
	v_mul_f32_dpp v212, v13, v212 row_newbcast:4 row_mask:0xf bank_mask:0xf// 000000009E7C: 0BA9A8FA FF01540D
	v_mul_f32_dpp v213, v13, v213 row_newbcast:5 row_mask:0xf bank_mask:0xf// 000000009E84: 0BABAAFA FF01550D
	v_mul_f32_dpp v214, v13, v214 row_newbcast:6 row_mask:0xf bank_mask:0xf// 000000009E8C: 0BADACFA FF01560D
	v_mul_f32_dpp v215, v13, v215 row_newbcast:7 row_mask:0xf bank_mask:0xf// 000000009E94: 0BAFAEFA FF01570D
	v_mul_f32_e32 v212, v21, v212                              // 000000009E9C: 0BA9A915
	v_mul_f32_e32 v213, v21, v213                              // 000000009EA0: 0BABAB15
	v_mul_f32_e32 v214, v21, v214                              // 000000009EA4: 0BADAD15
	v_mul_f32_e32 v215, v21, v215                              // 000000009EA8: 0BAFAF15
	v_mul_f32_e32 v216, v24, v216                              // 000000009EAC: 0BB1B118
	v_mul_f32_e32 v217, v24, v217                              // 000000009EB0: 0BB3B318
	v_mul_f32_e32 v218, v24, v218                              // 000000009EB4: 0BB5B518
	v_mul_f32_e32 v219, v24, v219                              // 000000009EB8: 0BB7B718
	v_mul_f32_dpp v216, v13, v216 row_newbcast:8 row_mask:0xf bank_mask:0xf// 000000009EBC: 0BB1B0FA FF01580D
	v_mul_f32_dpp v217, v13, v217 row_newbcast:9 row_mask:0xf bank_mask:0xf// 000000009EC4: 0BB3B2FA FF01590D
	v_mul_f32_dpp v218, v13, v218 row_newbcast:10 row_mask:0xf bank_mask:0xf// 000000009ECC: 0BB5B4FA FF015A0D
	v_mul_f32_dpp v219, v13, v219 row_newbcast:11 row_mask:0xf bank_mask:0xf// 000000009ED4: 0BB7B6FA FF015B0D
	v_mul_f32_e32 v216, v20, v216                              // 000000009EDC: 0BB1B114
	v_mul_f32_e32 v217, v20, v217                              // 000000009EE0: 0BB3B314
	v_mul_f32_e32 v218, v20, v218                              // 000000009EE4: 0BB5B514
	v_mul_f32_e32 v219, v20, v219                              // 000000009EE8: 0BB7B714
	v_mul_f32_e32 v220, v25, v220                              // 000000009EEC: 0BB9B919
	v_mul_f32_e32 v221, v25, v221                              // 000000009EF0: 0BBBBB19
	v_mul_f32_e32 v222, v25, v222                              // 000000009EF4: 0BBDBD19
	v_mul_f32_e32 v223, v25, v223                              // 000000009EF8: 0BBFBF19
	v_mul_f32_dpp v220, v13, v220 row_newbcast:8 row_mask:0xf bank_mask:0xf// 000000009EFC: 0BB9B8FA FF01580D
	v_mul_f32_dpp v221, v13, v221 row_newbcast:9 row_mask:0xf bank_mask:0xf// 000000009F04: 0BBBBAFA FF01590D
	v_mul_f32_dpp v222, v13, v222 row_newbcast:10 row_mask:0xf bank_mask:0xf// 000000009F0C: 0BBDBCFA FF015A0D
	v_mul_f32_dpp v223, v13, v223 row_newbcast:11 row_mask:0xf bank_mask:0xf// 000000009F14: 0BBFBEFA FF015B0D
	v_mul_f32_e32 v220, v21, v220                              // 000000009F1C: 0BB9B915
	v_mul_f32_e32 v221, v21, v221                              // 000000009F20: 0BBBBB15
	v_mul_f32_e32 v222, v21, v222                              // 000000009F24: 0BBDBD15
	v_mul_f32_e32 v223, v21, v223                              // 000000009F28: 0BBFBF15
	v_mul_f32_e32 v224, v24, v224                              // 000000009F2C: 0BC1C118
	v_mul_f32_e32 v225, v24, v225                              // 000000009F30: 0BC3C318
	v_mul_f32_e32 v226, v24, v226                              // 000000009F34: 0BC5C518
	v_mul_f32_e32 v227, v24, v227                              // 000000009F38: 0BC7C718
	v_mul_f32_dpp v224, v13, v224 row_newbcast:12 row_mask:0xf bank_mask:0xf// 000000009F3C: 0BC1C0FA FF015C0D
	v_mul_f32_dpp v225, v13, v225 row_newbcast:13 row_mask:0xf bank_mask:0xf// 000000009F44: 0BC3C2FA FF015D0D
	v_mul_f32_dpp v226, v13, v226 row_newbcast:14 row_mask:0xf bank_mask:0xf// 000000009F4C: 0BC5C4FA FF015E0D
	v_mul_f32_dpp v227, v13, v227 row_newbcast:15 row_mask:0xf bank_mask:0xf// 000000009F54: 0BC7C6FA FF015F0D
	v_mul_f32_e32 v224, v20, v224                              // 000000009F5C: 0BC1C114
	v_mul_f32_e32 v225, v20, v225                              // 000000009F60: 0BC3C314
	v_mul_f32_e32 v226, v20, v226                              // 000000009F64: 0BC5C514
	v_mul_f32_e32 v227, v20, v227                              // 000000009F68: 0BC7C714
	v_mul_f32_e32 v228, v25, v228                              // 000000009F6C: 0BC9C919
	v_mul_f32_e32 v229, v25, v229                              // 000000009F70: 0BCBCB19
	v_mul_f32_e32 v230, v25, v230                              // 000000009F74: 0BCDCD19
	v_mul_f32_e32 v231, v25, v231                              // 000000009F78: 0BCFCF19
	v_mul_f32_dpp v228, v13, v228 row_newbcast:12 row_mask:0xf bank_mask:0xf// 000000009F7C: 0BC9C8FA FF015C0D
	v_mul_f32_dpp v229, v13, v229 row_newbcast:13 row_mask:0xf bank_mask:0xf// 000000009F84: 0BCBCAFA FF015D0D
	v_mul_f32_dpp v230, v13, v230 row_newbcast:14 row_mask:0xf bank_mask:0xf// 000000009F8C: 0BCDCCFA FF015E0D
	v_mul_f32_dpp v231, v13, v231 row_newbcast:15 row_mask:0xf bank_mask:0xf// 000000009F94: 0BCFCEFA FF015F0D
	v_mul_f32_e32 v228, v21, v228                              // 000000009F9C: 0BC9C915
	v_mul_f32_e32 v229, v21, v229                              // 000000009FA0: 0BCBCB15
	v_mul_f32_e32 v230, v21, v230                              // 000000009FA4: 0BCDCD15
	v_mul_f32_e32 v231, v21, v231                              // 000000009FA8: 0BCFCF15
	v_cmp_u_f32_e64 s[48:49], v200, v200                       // 000000009FAC: D0480030 000391C8
	v_add3_u32 v43, v200, v46, 1                               // 000000009FB4: D1FF002B 02065DC8
	v_cndmask_b32_e64 v50, v43, v45, s[48:49]                  // 000000009FBC: D1000032 00C25B2B
	v_cmp_u_f32_e64 s[48:49], v201, v201                       // 000000009FC4: D0480030 000393C9
	v_add3_u32 v43, v201, v46, 1                               // 000000009FCC: D1FF002B 02065DC9
	v_cndmask_b32_e64 v51, v43, v45, s[48:49]                  // 000000009FD4: D1000033 00C25B2B
	v_perm_b32 v200, v51, v50, s52                             // 000000009FDC: D1ED00C8 00D26533
	v_cmp_u_f32_e64 s[48:49], v202, v202                       // 000000009FE4: D0480030 000395CA
	v_add3_u32 v43, v202, v46, 1                               // 000000009FEC: D1FF002B 02065DCA
	v_cndmask_b32_e64 v50, v43, v45, s[48:49]                  // 000000009FF4: D1000032 00C25B2B
	v_cmp_u_f32_e64 s[48:49], v203, v203                       // 000000009FFC: D0480030 000397CB
	v_add3_u32 v43, v203, v46, 1                               // 00000000A004: D1FF002B 02065DCB
	v_cndmask_b32_e64 v51, v43, v45, s[48:49]                  // 00000000A00C: D1000033 00C25B2B
	v_perm_b32 v201, v51, v50, s52                             // 00000000A014: D1ED00C9 00D26533
	v_cmp_u_f32_e64 s[48:49], v204, v204                       // 00000000A01C: D0480030 000399CC
	v_add3_u32 v43, v204, v46, 1                               // 00000000A024: D1FF002B 02065DCC
	v_cndmask_b32_e64 v50, v43, v45, s[48:49]                  // 00000000A02C: D1000032 00C25B2B
	v_cmp_u_f32_e64 s[48:49], v205, v205                       // 00000000A034: D0480030 00039BCD
	v_add3_u32 v43, v205, v46, 1                               // 00000000A03C: D1FF002B 02065DCD
	v_cndmask_b32_e64 v51, v43, v45, s[48:49]                  // 00000000A044: D1000033 00C25B2B
	v_perm_b32 v202, v51, v50, s52                             // 00000000A04C: D1ED00CA 00D26533
	v_cmp_u_f32_e64 s[48:49], v206, v206                       // 00000000A054: D0480030 00039DCE
	v_add3_u32 v43, v206, v46, 1                               // 00000000A05C: D1FF002B 02065DCE
	v_cndmask_b32_e64 v50, v43, v45, s[48:49]                  // 00000000A064: D1000032 00C25B2B
	v_cmp_u_f32_e64 s[48:49], v207, v207                       // 00000000A06C: D0480030 00039FCF
	v_add3_u32 v43, v207, v46, 1                               // 00000000A074: D1FF002B 02065DCF
	v_cndmask_b32_e64 v51, v43, v45, s[48:49]                  // 00000000A07C: D1000033 00C25B2B
	v_perm_b32 v203, v51, v50, s52                             // 00000000A084: D1ED00CB 00D26533
	v_cmp_u_f32_e64 s[48:49], v208, v208                       // 00000000A08C: D0480030 0003A1D0
	v_add3_u32 v43, v208, v46, 1                               // 00000000A094: D1FF002B 02065DD0
	v_cndmask_b32_e64 v50, v43, v45, s[48:49]                  // 00000000A09C: D1000032 00C25B2B
	v_cmp_u_f32_e64 s[48:49], v209, v209                       // 00000000A0A4: D0480030 0003A3D1
	v_add3_u32 v43, v209, v46, 1                               // 00000000A0AC: D1FF002B 02065DD1
	v_cndmask_b32_e64 v51, v43, v45, s[48:49]                  // 00000000A0B4: D1000033 00C25B2B
	v_perm_b32 v204, v51, v50, s52                             // 00000000A0BC: D1ED00CC 00D26533
	v_cmp_u_f32_e64 s[48:49], v210, v210                       // 00000000A0C4: D0480030 0003A5D2
	v_add3_u32 v43, v210, v46, 1                               // 00000000A0CC: D1FF002B 02065DD2
	v_cndmask_b32_e64 v50, v43, v45, s[48:49]                  // 00000000A0D4: D1000032 00C25B2B
	v_cmp_u_f32_e64 s[48:49], v211, v211                       // 00000000A0DC: D0480030 0003A7D3
	v_add3_u32 v43, v211, v46, 1                               // 00000000A0E4: D1FF002B 02065DD3
	v_cndmask_b32_e64 v51, v43, v45, s[48:49]                  // 00000000A0EC: D1000033 00C25B2B
	v_perm_b32 v205, v51, v50, s52                             // 00000000A0F4: D1ED00CD 00D26533
	v_cmp_u_f32_e64 s[48:49], v212, v212                       // 00000000A0FC: D0480030 0003A9D4
	v_add3_u32 v43, v212, v46, 1                               // 00000000A104: D1FF002B 02065DD4
	v_cndmask_b32_e64 v50, v43, v45, s[48:49]                  // 00000000A10C: D1000032 00C25B2B
	v_cmp_u_f32_e64 s[48:49], v213, v213                       // 00000000A114: D0480030 0003ABD5
	v_add3_u32 v43, v213, v46, 1                               // 00000000A11C: D1FF002B 02065DD5
	v_cndmask_b32_e64 v51, v43, v45, s[48:49]                  // 00000000A124: D1000033 00C25B2B
	v_perm_b32 v206, v51, v50, s52                             // 00000000A12C: D1ED00CE 00D26533
	v_cmp_u_f32_e64 s[48:49], v214, v214                       // 00000000A134: D0480030 0003ADD6
	v_add3_u32 v43, v214, v46, 1                               // 00000000A13C: D1FF002B 02065DD6
	v_cndmask_b32_e64 v50, v43, v45, s[48:49]                  // 00000000A144: D1000032 00C25B2B
	v_cmp_u_f32_e64 s[48:49], v215, v215                       // 00000000A14C: D0480030 0003AFD7
	v_add3_u32 v43, v215, v46, 1                               // 00000000A154: D1FF002B 02065DD7
	v_cndmask_b32_e64 v51, v43, v45, s[48:49]                  // 00000000A15C: D1000033 00C25B2B
	v_perm_b32 v207, v51, v50, s52                             // 00000000A164: D1ED00CF 00D26533
	v_cmp_u_f32_e64 s[48:49], v216, v216                       // 00000000A16C: D0480030 0003B1D8
	v_add3_u32 v43, v216, v46, 1                               // 00000000A174: D1FF002B 02065DD8
	v_cndmask_b32_e64 v50, v43, v45, s[48:49]                  // 00000000A17C: D1000032 00C25B2B
	v_cmp_u_f32_e64 s[48:49], v217, v217                       // 00000000A184: D0480030 0003B3D9
	v_add3_u32 v43, v217, v46, 1                               // 00000000A18C: D1FF002B 02065DD9
	v_cndmask_b32_e64 v51, v43, v45, s[48:49]                  // 00000000A194: D1000033 00C25B2B
	v_perm_b32 v208, v51, v50, s52                             // 00000000A19C: D1ED00D0 00D26533
	v_cmp_u_f32_e64 s[48:49], v218, v218                       // 00000000A1A4: D0480030 0003B5DA
	v_add3_u32 v43, v218, v46, 1                               // 00000000A1AC: D1FF002B 02065DDA
	v_cndmask_b32_e64 v50, v43, v45, s[48:49]                  // 00000000A1B4: D1000032 00C25B2B
	v_cmp_u_f32_e64 s[48:49], v219, v219                       // 00000000A1BC: D0480030 0003B7DB
	v_add3_u32 v43, v219, v46, 1                               // 00000000A1C4: D1FF002B 02065DDB
	v_cndmask_b32_e64 v51, v43, v45, s[48:49]                  // 00000000A1CC: D1000033 00C25B2B
	v_perm_b32 v209, v51, v50, s52                             // 00000000A1D4: D1ED00D1 00D26533
	v_cmp_u_f32_e64 s[48:49], v220, v220                       // 00000000A1DC: D0480030 0003B9DC
	v_add3_u32 v43, v220, v46, 1                               // 00000000A1E4: D1FF002B 02065DDC
	v_cndmask_b32_e64 v50, v43, v45, s[48:49]                  // 00000000A1EC: D1000032 00C25B2B
	v_cmp_u_f32_e64 s[48:49], v221, v221                       // 00000000A1F4: D0480030 0003BBDD
	v_add3_u32 v43, v221, v46, 1                               // 00000000A1FC: D1FF002B 02065DDD
	v_cndmask_b32_e64 v51, v43, v45, s[48:49]                  // 00000000A204: D1000033 00C25B2B
	v_perm_b32 v210, v51, v50, s52                             // 00000000A20C: D1ED00D2 00D26533
	v_cmp_u_f32_e64 s[48:49], v222, v222                       // 00000000A214: D0480030 0003BDDE
	v_add3_u32 v43, v222, v46, 1                               // 00000000A21C: D1FF002B 02065DDE
	v_cndmask_b32_e64 v50, v43, v45, s[48:49]                  // 00000000A224: D1000032 00C25B2B
	v_cmp_u_f32_e64 s[48:49], v223, v223                       // 00000000A22C: D0480030 0003BFDF
	v_add3_u32 v43, v223, v46, 1                               // 00000000A234: D1FF002B 02065DDF
	v_cndmask_b32_e64 v51, v43, v45, s[48:49]                  // 00000000A23C: D1000033 00C25B2B
	v_perm_b32 v211, v51, v50, s52                             // 00000000A244: D1ED00D3 00D26533
	v_cmp_u_f32_e64 s[48:49], v224, v224                       // 00000000A24C: D0480030 0003C1E0
	v_add3_u32 v43, v224, v46, 1                               // 00000000A254: D1FF002B 02065DE0
	v_cndmask_b32_e64 v50, v43, v45, s[48:49]                  // 00000000A25C: D1000032 00C25B2B
	v_cmp_u_f32_e64 s[48:49], v225, v225                       // 00000000A264: D0480030 0003C3E1
	v_add3_u32 v43, v225, v46, 1                               // 00000000A26C: D1FF002B 02065DE1
	v_cndmask_b32_e64 v51, v43, v45, s[48:49]                  // 00000000A274: D1000033 00C25B2B
	v_perm_b32 v212, v51, v50, s52                             // 00000000A27C: D1ED00D4 00D26533
	v_cmp_u_f32_e64 s[48:49], v226, v226                       // 00000000A284: D0480030 0003C5E2
	v_add3_u32 v43, v226, v46, 1                               // 00000000A28C: D1FF002B 02065DE2
	v_cndmask_b32_e64 v50, v43, v45, s[48:49]                  // 00000000A294: D1000032 00C25B2B
	v_cmp_u_f32_e64 s[48:49], v227, v227                       // 00000000A29C: D0480030 0003C7E3
	v_add3_u32 v43, v227, v46, 1                               // 00000000A2A4: D1FF002B 02065DE3
	v_cndmask_b32_e64 v51, v43, v45, s[48:49]                  // 00000000A2AC: D1000033 00C25B2B
	v_perm_b32 v213, v51, v50, s52                             // 00000000A2B4: D1ED00D5 00D26533
	v_cmp_u_f32_e64 s[48:49], v228, v228                       // 00000000A2BC: D0480030 0003C9E4
	v_add3_u32 v43, v228, v46, 1                               // 00000000A2C4: D1FF002B 02065DE4
	v_cndmask_b32_e64 v50, v43, v45, s[48:49]                  // 00000000A2CC: D1000032 00C25B2B
	v_cmp_u_f32_e64 s[48:49], v229, v229                       // 00000000A2D4: D0480030 0003CBE5
	v_add3_u32 v43, v229, v46, 1                               // 00000000A2DC: D1FF002B 02065DE5
	v_cndmask_b32_e64 v51, v43, v45, s[48:49]                  // 00000000A2E4: D1000033 00C25B2B
	v_perm_b32 v214, v51, v50, s52                             // 00000000A2EC: D1ED00D6 00D26533
	v_cmp_u_f32_e64 s[48:49], v230, v230                       // 00000000A2F4: D0480030 0003CDE6
	v_add3_u32 v43, v230, v46, 1                               // 00000000A2FC: D1FF002B 02065DE6
	v_cndmask_b32_e64 v50, v43, v45, s[48:49]                  // 00000000A304: D1000032 00C25B2B
	v_cmp_u_f32_e64 s[48:49], v231, v231                       // 00000000A30C: D0480030 0003CFE7
	v_add3_u32 v43, v231, v46, 1                               // 00000000A314: D1FF002B 02065DE7
	v_cndmask_b32_e64 v51, v43, v45, s[48:49]                  // 00000000A31C: D1000033 00C25B2B
	v_perm_b32 v215, v51, v50, s52                             // 00000000A324: D1ED00D7 00D26533
	ds_write_b64 v3, v[200:201] offset:28928                   // 00000000A32C: D89A7100 0000C803
	ds_write_b64 v3, v[202:203] offset:37632                   // 00000000A334: D89A9300 0000CA03
	ds_write_b64 v3, v[204:205] offset:31104                   // 00000000A33C: D89A7980 0000CC03
	ds_write_b64 v3, v[206:207] offset:39808                   // 00000000A344: D89A9B80 0000CE03
	ds_write_b64 v3, v[208:209] offset:33280                   // 00000000A34C: D89A8200 0000D003
	ds_write_b64 v3, v[210:211] offset:41984                   // 00000000A354: D89AA400 0000D203
	ds_write_b64 v3, v[212:213] offset:35456                   // 00000000A35C: D89A8A80 0000D403
	ds_write_b64 v3, v[214:215] offset:44160                   // 00000000A364: D89AAC80 0000D603
	s_waitcnt lgkmcnt(0)                                       // 00000000A36C: BF8CC07F
	s_barrier                                                  // 00000000A370: BF8A0000
	ds_read_b32 v64, v4 offset:28928                           // 00000000A374: D86C7100 40000004
	ds_read_b32 v65, v4 offset:33280                           // 00000000A37C: D86C8200 41000004
	ds_read_b32 v66, v4 offset:28960                           // 00000000A384: D86C7120 42000004
	ds_read_b32 v67, v4 offset:33312                           // 00000000A38C: D86C8220 43000004
	ds_read_b32 v68, v4 offset:28992                           // 00000000A394: D86C7140 44000004
	ds_read_b32 v69, v4 offset:33344                           // 00000000A39C: D86C8240 45000004
	ds_read_b32 v70, v4 offset:29024                           // 00000000A3A4: D86C7160 46000004
	ds_read_b32 v71, v4 offset:33376                           // 00000000A3AC: D86C8260 47000004
	ds_read_b32 v72, v4 offset:37632                           // 00000000A3B4: D86C9300 48000004
	ds_read_b32 v73, v4 offset:41984                           // 00000000A3BC: D86CA400 49000004
	ds_read_b32 v74, v4 offset:37664                           // 00000000A3C4: D86C9320 4A000004
	ds_read_b32 v75, v4 offset:42016                           // 00000000A3CC: D86CA420 4B000004
	ds_read_b32 v76, v4 offset:37696                           // 00000000A3D4: D86C9340 4C000004
	ds_read_b32 v77, v4 offset:42048                           // 00000000A3DC: D86CA440 4D000004
	ds_read_b32 v78, v4 offset:37728                           // 00000000A3E4: D86C9360 4E000004
	ds_read_b32 v79, v4 offset:42080                           // 00000000A3EC: D86CA460 4F000004
	s_waitcnt lgkmcnt(0)                                       // 00000000A3F4: BF8CC07F
	s_mov_b64 exec, s[20:21]                                   // 00000000A3F8: BEFE0114
	global_atomic_pk_add_bf16 v80, v64, s[8:9]                 // 00000000A3FC: DD488000 00084050
	s_mov_b64 exec, s[36:37]                                   // 00000000A404: BEFE0124
	s_mov_b64 exec, s[20:21]                                   // 00000000A408: BEFE0114
	global_atomic_pk_add_bf16 v80, v65, s[8:9] offset:256      // 00000000A40C: DD488100 00084150
	s_mov_b64 exec, s[36:37]                                   // 00000000A414: BEFE0124
	s_mov_b64 exec, s[22:23]                                   // 00000000A418: BEFE0116
	global_atomic_pk_add_bf16 v82, v66, s[8:9]                 // 00000000A41C: DD488000 00084252
	s_mov_b64 exec, s[36:37]                                   // 00000000A424: BEFE0124
	s_mov_b64 exec, s[22:23]                                   // 00000000A428: BEFE0116
	global_atomic_pk_add_bf16 v82, v67, s[8:9] offset:256      // 00000000A42C: DD488100 00084352
	s_mov_b64 exec, s[36:37]                                   // 00000000A434: BEFE0124
	s_mov_b64 exec, s[24:25]                                   // 00000000A438: BEFE0118
	global_atomic_pk_add_bf16 v84, v68, s[8:9]                 // 00000000A43C: DD488000 00084454
	s_mov_b64 exec, s[36:37]                                   // 00000000A444: BEFE0124
	s_mov_b64 exec, s[24:25]                                   // 00000000A448: BEFE0118
	global_atomic_pk_add_bf16 v84, v69, s[8:9] offset:256      // 00000000A44C: DD488100 00084554
	s_mov_b64 exec, s[36:37]                                   // 00000000A454: BEFE0124
	s_mov_b64 exec, s[26:27]                                   // 00000000A458: BEFE011A
	global_atomic_pk_add_bf16 v86, v70, s[8:9]                 // 00000000A45C: DD488000 00084656
	s_mov_b64 exec, s[36:37]                                   // 00000000A464: BEFE0124
	s_mov_b64 exec, s[26:27]                                   // 00000000A468: BEFE011A
	global_atomic_pk_add_bf16 v86, v71, s[8:9] offset:256      // 00000000A46C: DD488100 00084756
	s_mov_b64 exec, s[36:37]                                   // 00000000A474: BEFE0124
	s_mov_b64 exec, s[28:29]                                   // 00000000A478: BEFE011C
	global_atomic_pk_add_bf16 v88, v72, s[8:9]                 // 00000000A47C: DD488000 00084858
	s_mov_b64 exec, s[36:37]                                   // 00000000A484: BEFE0124
	s_mov_b64 exec, s[28:29]                                   // 00000000A488: BEFE011C
	global_atomic_pk_add_bf16 v88, v73, s[8:9] offset:256      // 00000000A48C: DD488100 00084958
	s_mov_b64 exec, s[36:37]                                   // 00000000A494: BEFE0124
	s_mov_b64 exec, s[30:31]                                   // 00000000A498: BEFE011E
	global_atomic_pk_add_bf16 v90, v74, s[8:9]                 // 00000000A49C: DD488000 00084A5A
	s_mov_b64 exec, s[36:37]                                   // 00000000A4A4: BEFE0124
	s_mov_b64 exec, s[30:31]                                   // 00000000A4A8: BEFE011E
	global_atomic_pk_add_bf16 v90, v75, s[8:9] offset:256      // 00000000A4AC: DD488100 00084B5A
	s_mov_b64 exec, s[36:37]                                   // 00000000A4B4: BEFE0124
	s_mov_b64 exec, s[32:33]                                   // 00000000A4B8: BEFE0120
	global_atomic_pk_add_bf16 v92, v76, s[8:9]                 // 00000000A4BC: DD488000 00084C5C
	s_mov_b64 exec, s[36:37]                                   // 00000000A4C4: BEFE0124
	s_mov_b64 exec, s[32:33]                                   // 00000000A4C8: BEFE0120
	global_atomic_pk_add_bf16 v92, v77, s[8:9] offset:256      // 00000000A4CC: DD488100 00084D5C
	s_mov_b64 exec, s[36:37]                                   // 00000000A4D4: BEFE0124
	s_mov_b64 exec, s[34:35]                                   // 00000000A4D8: BEFE0122
	global_atomic_pk_add_bf16 v94, v78, s[8:9]                 // 00000000A4DC: DD488000 00084E5E
	s_mov_b64 exec, s[36:37]                                   // 00000000A4E4: BEFE0124
	s_mov_b64 exec, s[34:35]                                   // 00000000A4E8: BEFE0122
	global_atomic_pk_add_bf16 v94, v79, s[8:9] offset:256      // 00000000A4EC: DD488100 00084F5E
	s_mov_b64 exec, s[36:37]                                   // 00000000A4F4: BEFE0124
	s_add_u32 s8, s59, s8                                      // 00000000A4F8: 8008083B
	s_addc_u32 s9, 0, s9                                       // 00000000A4FC: 82090980
	s_addk_i32 s80, 0x100                                      // 00000000A500: B7500100
	s_cmp_lt_i32 s80, s81                                      // 00000000A504: BF045150
	s_cbranch_scc0 label_1036                                  // 00000000A508: BF84F273
	s_branch label_184F                                        // 00000000A50C: BF82FA8B

000000000000a510 <label_1DC4>:
	s_waitcnt vmcnt(0) expcnt(0) lgkmcnt(0)                    // 00000000A510: BF8C0000
	s_add_u32 s100, s100, 1                                    // 00000000A514: 80648164
	s_cmp_eq_u32 s96, 0                                        // 00000000A518: BF068060
	s_cbranch_scc0 label_0039                                  // 00000000A51C: BF84E271

000000000000a520 <label_1DC8>:
	s_waitcnt vmcnt(0) expcnt(0) lgkmcnt(0)                    // 00000000A520: BF8C0000
	s_endpgm                                                   // 00000000A524: BF810000
